;; amdgpu-corpus repo=ROCm/rocBLAS kind=compiled arch=gfx950 opt=O3
	.amdgcn_target "amdgcn-amd-amdhsa--gfx950"
	.amdhsa_code_object_version 6
	.section	.text._ZL20rocblas_gbmvn_kernelILi32ELi32E24rocblas_internal_val_ptrIdEPKPKdPKPdEvbiiiiT1_T2_lllSA_lllS9_T3_llli,"axG",@progbits,_ZL20rocblas_gbmvn_kernelILi32ELi32E24rocblas_internal_val_ptrIdEPKPKdPKPdEvbiiiiT1_T2_lllSA_lllS9_T3_llli,comdat
	.globl	_ZL20rocblas_gbmvn_kernelILi32ELi32E24rocblas_internal_val_ptrIdEPKPKdPKPdEvbiiiiT1_T2_lllSA_lllS9_T3_llli ; -- Begin function _ZL20rocblas_gbmvn_kernelILi32ELi32E24rocblas_internal_val_ptrIdEPKPKdPKPdEvbiiiiT1_T2_lllSA_lllS9_T3_llli
	.p2align	8
	.type	_ZL20rocblas_gbmvn_kernelILi32ELi32E24rocblas_internal_val_ptrIdEPKPKdPKPdEvbiiiiT1_T2_lllSA_lllS9_T3_llli,@function
_ZL20rocblas_gbmvn_kernelILi32ELi32E24rocblas_internal_val_ptrIdEPKPKdPKPdEvbiiiiT1_T2_lllSA_lllS9_T3_llli: ; @_ZL20rocblas_gbmvn_kernelILi32ELi32E24rocblas_internal_val_ptrIdEPKPKdPKPdEvbiiiiT1_T2_lllSA_lllS9_T3_llli
; %bb.0:
	s_load_dwordx4 s[20:23], s[0:1], 0x0
	s_load_dwordx8 s[12:19], s[0:1], 0x18
	s_load_dwordx8 s[4:11], s[0:1], 0x60
	s_mov_b32 s24, s3
	s_waitcnt lgkmcnt(0)
	s_bitcmp1_b32 s20, 0
	s_cselect_b64 s[28:29], -1, 0
	s_xor_b64 s[26:27], s[28:29], -1
	s_and_b64 vcc, exec, s[28:29]
	v_mov_b64_e32 v[4:5], s[12:13]
	s_cbranch_vccnz .LBB0_2
; %bb.1:
	v_mov_b64_e32 v[2:3], s[12:13]
	flat_load_dwordx2 v[4:5], v[2:3]
.LBB0_2:
	s_andn2_b64 vcc, exec, s[26:27]
	v_mov_b64_e32 v[2:3], s[4:5]
	s_cbranch_vccnz .LBB0_4
; %bb.3:
	v_mov_b64_e32 v[2:3], s[4:5]
	flat_load_dwordx2 v[2:3], v[2:3]
.LBB0_4:
	s_waitcnt vmcnt(0) lgkmcnt(0)
	v_cmp_neq_f64_e32 vcc, 0, v[4:5]
	v_cmp_neq_f64_e64 s[4:5], 1.0, v[2:3]
	s_or_b64 s[4:5], vcc, s[4:5]
	s_and_saveexec_b64 s[12:13], s[4:5]
	s_cbranch_execz .LBB0_15
; %bb.5:
	s_mov_b32 s25, 0
	v_cmp_neq_f64_e64 s[4:5], 0, v[4:5]
	v_cmp_eq_f64_e32 vcc, 0, v[4:5]
	v_mov_b64_e32 v[6:7], s[24:25]
	s_and_saveexec_b64 s[12:13], vcc
	s_xor_b64 s[12:13], exec, s[12:13]
; %bb.6:
	v_mov_b64_e32 v[6:7], s[24:25]
; %bb.7:
	s_or_saveexec_b64 s[12:13], s[12:13]
	s_load_dword s3, s[0:1], 0x10
	v_mov_b64_e32 v[10:11], 0
	v_mov_b64_e32 v[8:9], 0
	s_xor_b64 exec, exec, s[12:13]
	s_cbranch_execz .LBB0_9
; %bb.8:
	s_lshl_b64 s[24:25], s[24:25], 3
	s_add_u32 s14, s14, s24
	s_addc_u32 s15, s15, s25
	s_load_dwordx2 s[14:15], s[14:15], 0x0
	s_lshl_b64 s[16:17], s[16:17], 3
	s_waitcnt lgkmcnt(0)
	s_add_u32 s14, s14, s16
	s_addc_u32 s15, s15, s17
	v_mov_b64_e32 v[8:9], s[14:15]
.LBB0_9:
	s_or_b64 exec, exec, s[12:13]
	s_load_dwordx4 s[12:15], s[0:1], 0x40
	s_load_dwordx2 s[16:17], s[0:1], 0x50
	s_and_saveexec_b64 s[0:1], s[4:5]
	s_cbranch_execz .LBB0_11
; %bb.10:
	s_waitcnt lgkmcnt(0)
	v_mov_b32_e32 v10, s12
	v_mov_b32_e32 v11, s13
	v_lshl_add_u64 v[10:11], v[6:7], 3, v[10:11]
	global_load_dwordx2 v[10:11], v[10:11], off
	s_waitcnt vmcnt(0)
	v_lshl_add_u64 v[10:11], s[14:15], 3, v[10:11]
.LBB0_11:
	s_or_b64 exec, exec, s[0:1]
	v_bfe_u32 v1, v0, 10, 10
	v_lshl_add_u32 v14, s2, 5, v1
	v_cmp_gt_i32_e64 s[0:1], s21, v14
	s_and_b64 exec, exec, s[0:1]
	s_cbranch_execz .LBB0_15
; %bb.12:
	v_mov_b32_e32 v12, s6
	v_mov_b32_e32 v13, s7
	v_lshl_add_u64 v[6:7], v[6:7], 3, v[12:13]
	global_load_dwordx2 v[6:7], v[6:7], off
                                        ; implicit-def: $vgpr15
	s_and_saveexec_b64 s[0:1], vcc
	s_xor_b64 s[0:1], exec, s[0:1]
	s_cbranch_execnz .LBB0_16
; %bb.13:
	s_or_saveexec_b64 s[0:1], s[0:1]
	v_mov_b64_e32 v[12:13], 0
	s_xor_b64 exec, exec, s[0:1]
	s_cbranch_execnz .LBB0_17
.LBB0_14:
	s_or_b64 exec, exec, s[0:1]
	v_cmp_eq_u32_e32 vcc, 0, v15
	s_and_b64 exec, exec, vcc
	s_cbranch_execnz .LBB0_24
.LBB0_15:
	s_endpgm
.LBB0_16:
	v_and_b32_e32 v15, 0x3ff, v0
                                        ; implicit-def: $vgpr4_vgpr5
                                        ; implicit-def: $vgpr0
                                        ; implicit-def: $vgpr10_vgpr11
                                        ; implicit-def: $vgpr8_vgpr9
	s_or_saveexec_b64 s[0:1], s[0:1]
	v_mov_b64_e32 v[12:13], 0
	s_xor_b64 exec, exec, s[0:1]
	s_cbranch_execz .LBB0_14
.LBB0_17:
	v_and_b32_e32 v15, 0x3ff, v0
	v_min_i32_e32 v1, s23, v14
	s_waitcnt lgkmcnt(0)
	v_sub_u32_e32 v0, s3, v15
	v_add_u32_e32 v0, v0, v1
	v_cmp_lt_i32_e32 vcc, -1, v0
	v_mov_b64_e32 v[12:13], 0
	s_and_saveexec_b64 s[2:3], vcc
	s_cbranch_execz .LBB0_23
; %bb.18:
	v_subrev_u32_e32 v1, s23, v14
	v_max_i32_e32 v1, 0, v1
	v_add_u32_e32 v16, v1, v15
	v_ashrrev_i32_e32 v1, 31, v16
	v_mul_lo_u32 v17, s16, v1
	v_mul_lo_u32 v18, s17, v16
	v_mad_u64_u32 v[12:13], s[4:5], s16, v16, 0
	v_add3_u32 v13, v13, v17, v18
	v_lshl_add_u64 v[10:11], v[12:13], 3, v[10:11]
	v_mul_lo_u32 v1, s18, v1
	v_mul_lo_u32 v17, s19, v16
	v_mad_u64_u32 v[12:13], s[6:7], s18, v16, 0
	v_add3_u32 v13, v13, v1, v17
	v_mov_b32_e32 v1, 0
	s_lshl_b64 s[4:5], s[16:17], 8
	v_lshlrev_b64 v[18:19], 3, v[0:1]
	s_lshl_b64 s[6:7], s[18:19], 8
	v_lshl_add_u64 v[12:13], v[12:13], 3, v[18:19]
	s_add_u32 s6, s6, 0xffffff00
	v_lshl_add_u64 v[8:9], v[8:9], 0, v[12:13]
	s_addc_u32 s7, s7, -1
	v_mov_b64_e32 v[12:13], 0
	s_mov_b64 s[12:13], 0
	s_mov_b64 s[14:15], 0
	s_branch .LBB0_20
.LBB0_19:                               ;   in Loop: Header=BB0_20 Depth=1
	s_or_b64 exec, exec, s[16:17]
	s_add_u32 s14, s14, 0xffffffe0
	v_add3_u32 v1, v0, s14, 32
	s_addc_u32 s15, s15, -1
	v_cmp_gt_u32_e32 vcc, 32, v1
	v_add_u32_e32 v16, 32, v16
	v_lshl_add_u64 v[10:11], v[10:11], 0, s[4:5]
	s_or_b64 s[12:13], vcc, s[12:13]
	v_lshl_add_u64 v[8:9], v[8:9], 0, s[6:7]
	s_andn2_b64 exec, exec, s[12:13]
	s_cbranch_execz .LBB0_22
.LBB0_20:                               ; =>This Inner Loop Header: Depth=1
	v_cmp_gt_i32_e32 vcc, s22, v16
	s_and_saveexec_b64 s[16:17], vcc
	s_cbranch_execz .LBB0_19
; %bb.21:                               ;   in Loop: Header=BB0_20 Depth=1
	flat_load_dwordx2 v[18:19], v[8:9]
	flat_load_dwordx2 v[20:21], v[10:11]
	s_waitcnt vmcnt(0) lgkmcnt(0)
	v_fmac_f64_e32 v[12:13], v[18:19], v[20:21]
	s_branch .LBB0_19
.LBB0_22:
	s_or_b64 exec, exec, s[12:13]
.LBB0_23:
	s_or_b64 exec, exec, s[2:3]
	v_mbcnt_lo_u32_b32 v0, -1, 0
	v_mbcnt_hi_u32_b32 v10, -1, v0
	v_and_b32_e32 v11, 63, v10
	v_cmp_gt_u32_e32 vcc, 48, v11
	s_barrier
	s_nop 0
	v_cndmask_b32_e64 v0, 0, 16, vcc
	v_add_lshl_u32 v1, v0, v10, 2
	ds_bpermute_b32 v0, v1, v12
	ds_bpermute_b32 v1, v1, v13
	v_cmp_gt_u32_e32 vcc, 56, v11
	s_waitcnt lgkmcnt(0)
	v_add_f64 v[0:1], v[12:13], v[0:1]
	v_cndmask_b32_e64 v8, 0, 8, vcc
	v_add_lshl_u32 v9, v8, v10, 2
	ds_bpermute_b32 v8, v9, v0
	ds_bpermute_b32 v9, v9, v1
	v_cmp_gt_u32_e32 vcc, 60, v11
	s_waitcnt lgkmcnt(0)
	v_add_f64 v[0:1], v[0:1], v[8:9]
	;; [unrolled: 7-line block ×3, first 2 shown]
	v_cndmask_b32_e64 v12, 0, 2, vcc
	v_add_lshl_u32 v9, v12, v10, 2
	ds_bpermute_b32 v8, v9, v0
	ds_bpermute_b32 v9, v9, v1
	v_cmp_ne_u32_e32 vcc, 63, v11
	s_waitcnt lgkmcnt(0)
	v_add_f64 v[0:1], v[0:1], v[8:9]
	v_addc_co_u32_e32 v8, vcc, 0, v10, vcc
	v_lshlrev_b32_e32 v9, 2, v8
	ds_bpermute_b32 v8, v9, v0
	ds_bpermute_b32 v9, v9, v1
	s_waitcnt lgkmcnt(0)
	v_add_f64 v[0:1], v[0:1], v[8:9]
	v_mul_f64 v[12:13], v[4:5], v[0:1]
	s_or_b64 exec, exec, s[0:1]
	v_cmp_eq_u32_e32 vcc, 0, v15
	s_and_b64 exec, exec, vcc
	s_cbranch_execz .LBB0_15
.LBB0_24:
	v_ashrrev_i32_e32 v4, 31, v14
	s_waitcnt vmcnt(0)
	v_lshl_add_u64 v[0:1], s[8:9], 3, v[6:7]
	v_mul_lo_u32 v6, s11, v14
	v_mul_lo_u32 v7, s10, v4
	v_mad_u64_u32 v[4:5], s[0:1], s10, v14, 0
	v_add3_u32 v5, v5, v7, v6
	v_cmp_neq_f64_e32 vcc, 0, v[2:3]
	v_lshl_add_u64 v[0:1], v[4:5], 3, v[0:1]
	s_and_saveexec_b64 s[0:1], vcc
	s_cbranch_execz .LBB0_26
; %bb.25:
	flat_load_dwordx2 v[4:5], v[0:1]
	s_waitcnt vmcnt(0) lgkmcnt(0)
	v_fmac_f64_e32 v[12:13], v[2:3], v[4:5]
.LBB0_26:
	s_or_b64 exec, exec, s[0:1]
	flat_store_dwordx2 v[0:1], v[12:13]
	s_endpgm
	.section	.rodata,"a",@progbits
	.p2align	6, 0x0
	.amdhsa_kernel _ZL20rocblas_gbmvn_kernelILi32ELi32E24rocblas_internal_val_ptrIdEPKPKdPKPdEvbiiiiT1_T2_lllSA_lllS9_T3_llli
		.amdhsa_group_segment_fixed_size 0
		.amdhsa_private_segment_fixed_size 0
		.amdhsa_kernarg_size 140
		.amdhsa_user_sgpr_count 2
		.amdhsa_user_sgpr_dispatch_ptr 0
		.amdhsa_user_sgpr_queue_ptr 0
		.amdhsa_user_sgpr_kernarg_segment_ptr 1
		.amdhsa_user_sgpr_dispatch_id 0
		.amdhsa_user_sgpr_kernarg_preload_length 0
		.amdhsa_user_sgpr_kernarg_preload_offset 0
		.amdhsa_user_sgpr_private_segment_size 0
		.amdhsa_uses_dynamic_stack 0
		.amdhsa_enable_private_segment 0
		.amdhsa_system_sgpr_workgroup_id_x 1
		.amdhsa_system_sgpr_workgroup_id_y 0
		.amdhsa_system_sgpr_workgroup_id_z 1
		.amdhsa_system_sgpr_workgroup_info 0
		.amdhsa_system_vgpr_workitem_id 1
		.amdhsa_next_free_vgpr 22
		.amdhsa_next_free_sgpr 30
		.amdhsa_accum_offset 24
		.amdhsa_reserve_vcc 1
		.amdhsa_float_round_mode_32 0
		.amdhsa_float_round_mode_16_64 0
		.amdhsa_float_denorm_mode_32 3
		.amdhsa_float_denorm_mode_16_64 3
		.amdhsa_dx10_clamp 1
		.amdhsa_ieee_mode 1
		.amdhsa_fp16_overflow 0
		.amdhsa_tg_split 0
		.amdhsa_exception_fp_ieee_invalid_op 0
		.amdhsa_exception_fp_denorm_src 0
		.amdhsa_exception_fp_ieee_div_zero 0
		.amdhsa_exception_fp_ieee_overflow 0
		.amdhsa_exception_fp_ieee_underflow 0
		.amdhsa_exception_fp_ieee_inexact 0
		.amdhsa_exception_int_div_zero 0
	.end_amdhsa_kernel
	.section	.text._ZL20rocblas_gbmvn_kernelILi32ELi32E24rocblas_internal_val_ptrIdEPKPKdPKPdEvbiiiiT1_T2_lllSA_lllS9_T3_llli,"axG",@progbits,_ZL20rocblas_gbmvn_kernelILi32ELi32E24rocblas_internal_val_ptrIdEPKPKdPKPdEvbiiiiT1_T2_lllSA_lllS9_T3_llli,comdat
.Lfunc_end0:
	.size	_ZL20rocblas_gbmvn_kernelILi32ELi32E24rocblas_internal_val_ptrIdEPKPKdPKPdEvbiiiiT1_T2_lllSA_lllS9_T3_llli, .Lfunc_end0-_ZL20rocblas_gbmvn_kernelILi32ELi32E24rocblas_internal_val_ptrIdEPKPKdPKPdEvbiiiiT1_T2_lllSA_lllS9_T3_llli
                                        ; -- End function
	.set _ZL20rocblas_gbmvn_kernelILi32ELi32E24rocblas_internal_val_ptrIdEPKPKdPKPdEvbiiiiT1_T2_lllSA_lllS9_T3_llli.num_vgpr, 22
	.set _ZL20rocblas_gbmvn_kernelILi32ELi32E24rocblas_internal_val_ptrIdEPKPKdPKPdEvbiiiiT1_T2_lllSA_lllS9_T3_llli.num_agpr, 0
	.set _ZL20rocblas_gbmvn_kernelILi32ELi32E24rocblas_internal_val_ptrIdEPKPKdPKPdEvbiiiiT1_T2_lllSA_lllS9_T3_llli.numbered_sgpr, 30
	.set _ZL20rocblas_gbmvn_kernelILi32ELi32E24rocblas_internal_val_ptrIdEPKPKdPKPdEvbiiiiT1_T2_lllSA_lllS9_T3_llli.num_named_barrier, 0
	.set _ZL20rocblas_gbmvn_kernelILi32ELi32E24rocblas_internal_val_ptrIdEPKPKdPKPdEvbiiiiT1_T2_lllSA_lllS9_T3_llli.private_seg_size, 0
	.set _ZL20rocblas_gbmvn_kernelILi32ELi32E24rocblas_internal_val_ptrIdEPKPKdPKPdEvbiiiiT1_T2_lllSA_lllS9_T3_llli.uses_vcc, 1
	.set _ZL20rocblas_gbmvn_kernelILi32ELi32E24rocblas_internal_val_ptrIdEPKPKdPKPdEvbiiiiT1_T2_lllSA_lllS9_T3_llli.uses_flat_scratch, 0
	.set _ZL20rocblas_gbmvn_kernelILi32ELi32E24rocblas_internal_val_ptrIdEPKPKdPKPdEvbiiiiT1_T2_lllSA_lllS9_T3_llli.has_dyn_sized_stack, 0
	.set _ZL20rocblas_gbmvn_kernelILi32ELi32E24rocblas_internal_val_ptrIdEPKPKdPKPdEvbiiiiT1_T2_lllSA_lllS9_T3_llli.has_recursion, 0
	.set _ZL20rocblas_gbmvn_kernelILi32ELi32E24rocblas_internal_val_ptrIdEPKPKdPKPdEvbiiiiT1_T2_lllSA_lllS9_T3_llli.has_indirect_call, 0
	.section	.AMDGPU.csdata,"",@progbits
; Kernel info:
; codeLenInByte = 1104
; TotalNumSgprs: 36
; NumVgprs: 22
; NumAgprs: 0
; TotalNumVgprs: 22
; ScratchSize: 0
; MemoryBound: 1
; FloatMode: 240
; IeeeMode: 1
; LDSByteSize: 0 bytes/workgroup (compile time only)
; SGPRBlocks: 4
; VGPRBlocks: 2
; NumSGPRsForWavesPerEU: 36
; NumVGPRsForWavesPerEU: 22
; AccumOffset: 24
; Occupancy: 8
; WaveLimiterHint : 1
; COMPUTE_PGM_RSRC2:SCRATCH_EN: 0
; COMPUTE_PGM_RSRC2:USER_SGPR: 2
; COMPUTE_PGM_RSRC2:TRAP_HANDLER: 0
; COMPUTE_PGM_RSRC2:TGID_X_EN: 1
; COMPUTE_PGM_RSRC2:TGID_Y_EN: 0
; COMPUTE_PGM_RSRC2:TGID_Z_EN: 1
; COMPUTE_PGM_RSRC2:TIDIG_COMP_CNT: 1
; COMPUTE_PGM_RSRC3_GFX90A:ACCUM_OFFSET: 5
; COMPUTE_PGM_RSRC3_GFX90A:TG_SPLIT: 0
	.section	.text._ZL20rocblas_gbmvn_kernelILi64ELi16E24rocblas_internal_val_ptrIdEPKPKdPKPdEvbiiiiT1_T2_lllSA_lllS9_T3_llli,"axG",@progbits,_ZL20rocblas_gbmvn_kernelILi64ELi16E24rocblas_internal_val_ptrIdEPKPKdPKPdEvbiiiiT1_T2_lllSA_lllS9_T3_llli,comdat
	.globl	_ZL20rocblas_gbmvn_kernelILi64ELi16E24rocblas_internal_val_ptrIdEPKPKdPKPdEvbiiiiT1_T2_lllSA_lllS9_T3_llli ; -- Begin function _ZL20rocblas_gbmvn_kernelILi64ELi16E24rocblas_internal_val_ptrIdEPKPKdPKPdEvbiiiiT1_T2_lllSA_lllS9_T3_llli
	.p2align	8
	.type	_ZL20rocblas_gbmvn_kernelILi64ELi16E24rocblas_internal_val_ptrIdEPKPKdPKPdEvbiiiiT1_T2_lllSA_lllS9_T3_llli,@function
_ZL20rocblas_gbmvn_kernelILi64ELi16E24rocblas_internal_val_ptrIdEPKPKdPKPdEvbiiiiT1_T2_lllSA_lllS9_T3_llli: ; @_ZL20rocblas_gbmvn_kernelILi64ELi16E24rocblas_internal_val_ptrIdEPKPKdPKPdEvbiiiiT1_T2_lllSA_lllS9_T3_llli
; %bb.0:
	s_load_dwordx4 s[20:23], s[0:1], 0x0
	s_load_dwordx8 s[12:19], s[0:1], 0x18
	s_load_dwordx8 s[4:11], s[0:1], 0x60
	s_mov_b32 s24, s3
	s_waitcnt lgkmcnt(0)
	s_bitcmp1_b32 s20, 0
	s_cselect_b64 s[28:29], -1, 0
	s_xor_b64 s[26:27], s[28:29], -1
	s_and_b64 vcc, exec, s[28:29]
	v_mov_b64_e32 v[4:5], s[12:13]
	s_cbranch_vccnz .LBB1_2
; %bb.1:
	v_mov_b64_e32 v[2:3], s[12:13]
	flat_load_dwordx2 v[4:5], v[2:3]
.LBB1_2:
	s_andn2_b64 vcc, exec, s[26:27]
	v_mov_b64_e32 v[2:3], s[4:5]
	s_cbranch_vccnz .LBB1_4
; %bb.3:
	v_mov_b64_e32 v[2:3], s[4:5]
	flat_load_dwordx2 v[2:3], v[2:3]
.LBB1_4:
	s_waitcnt vmcnt(0) lgkmcnt(0)
	v_cmp_neq_f64_e32 vcc, 0, v[4:5]
	v_cmp_neq_f64_e64 s[4:5], 1.0, v[2:3]
	s_or_b64 s[4:5], vcc, s[4:5]
	s_and_saveexec_b64 s[12:13], s[4:5]
	s_cbranch_execz .LBB1_15
; %bb.5:
	s_mov_b32 s25, 0
	v_cmp_neq_f64_e64 s[4:5], 0, v[4:5]
	v_cmp_eq_f64_e32 vcc, 0, v[4:5]
	v_mov_b64_e32 v[6:7], s[24:25]
	s_and_saveexec_b64 s[12:13], vcc
	s_xor_b64 s[12:13], exec, s[12:13]
; %bb.6:
	v_mov_b64_e32 v[6:7], s[24:25]
; %bb.7:
	s_or_saveexec_b64 s[12:13], s[12:13]
	s_load_dword s3, s[0:1], 0x10
	v_mov_b64_e32 v[10:11], 0
	v_mov_b64_e32 v[8:9], 0
	s_xor_b64 exec, exec, s[12:13]
	s_cbranch_execz .LBB1_9
; %bb.8:
	s_lshl_b64 s[24:25], s[24:25], 3
	s_add_u32 s14, s14, s24
	s_addc_u32 s15, s15, s25
	s_load_dwordx2 s[14:15], s[14:15], 0x0
	s_lshl_b64 s[16:17], s[16:17], 3
	s_waitcnt lgkmcnt(0)
	s_add_u32 s14, s14, s16
	s_addc_u32 s15, s15, s17
	v_mov_b64_e32 v[8:9], s[14:15]
.LBB1_9:
	s_or_b64 exec, exec, s[12:13]
	s_load_dwordx4 s[12:15], s[0:1], 0x40
	s_load_dwordx2 s[16:17], s[0:1], 0x50
	s_and_saveexec_b64 s[0:1], s[4:5]
	s_cbranch_execz .LBB1_11
; %bb.10:
	s_waitcnt lgkmcnt(0)
	v_mov_b32_e32 v10, s12
	v_mov_b32_e32 v11, s13
	v_lshl_add_u64 v[10:11], v[6:7], 3, v[10:11]
	global_load_dwordx2 v[10:11], v[10:11], off
	s_waitcnt vmcnt(0)
	v_lshl_add_u64 v[10:11], s[14:15], 3, v[10:11]
.LBB1_11:
	s_or_b64 exec, exec, s[0:1]
	v_bfe_u32 v1, v0, 10, 10
	v_lshl_add_u32 v14, s2, 4, v1
	v_cmp_gt_i32_e64 s[0:1], s21, v14
	s_and_b64 exec, exec, s[0:1]
	s_cbranch_execz .LBB1_15
; %bb.12:
	v_mov_b32_e32 v12, s6
	v_mov_b32_e32 v13, s7
	v_lshl_add_u64 v[6:7], v[6:7], 3, v[12:13]
	global_load_dwordx2 v[6:7], v[6:7], off
                                        ; implicit-def: $vgpr15
	s_and_saveexec_b64 s[0:1], vcc
	s_xor_b64 s[0:1], exec, s[0:1]
	s_cbranch_execnz .LBB1_16
; %bb.13:
	s_or_saveexec_b64 s[0:1], s[0:1]
	v_mov_b64_e32 v[12:13], 0
	s_xor_b64 exec, exec, s[0:1]
	s_cbranch_execnz .LBB1_17
.LBB1_14:
	s_or_b64 exec, exec, s[0:1]
	v_cmp_eq_u32_e32 vcc, 0, v15
	s_and_b64 exec, exec, vcc
	s_cbranch_execnz .LBB1_24
.LBB1_15:
	s_endpgm
.LBB1_16:
	v_and_b32_e32 v15, 0x3ff, v0
                                        ; implicit-def: $vgpr4_vgpr5
                                        ; implicit-def: $vgpr0
                                        ; implicit-def: $vgpr10_vgpr11
                                        ; implicit-def: $vgpr8_vgpr9
	s_or_saveexec_b64 s[0:1], s[0:1]
	v_mov_b64_e32 v[12:13], 0
	s_xor_b64 exec, exec, s[0:1]
	s_cbranch_execz .LBB1_14
.LBB1_17:
	v_and_b32_e32 v15, 0x3ff, v0
	v_min_i32_e32 v1, s23, v14
	s_waitcnt lgkmcnt(0)
	v_sub_u32_e32 v0, s3, v15
	v_add_u32_e32 v0, v0, v1
	v_cmp_lt_i32_e32 vcc, -1, v0
	v_mov_b64_e32 v[12:13], 0
	s_and_saveexec_b64 s[2:3], vcc
	s_cbranch_execz .LBB1_23
; %bb.18:
	v_subrev_u32_e32 v1, s23, v14
	v_max_i32_e32 v1, 0, v1
	v_add_u32_e32 v16, v1, v15
	v_ashrrev_i32_e32 v1, 31, v16
	v_mul_lo_u32 v17, s16, v1
	v_mul_lo_u32 v18, s17, v16
	v_mad_u64_u32 v[12:13], s[4:5], s16, v16, 0
	v_add3_u32 v13, v13, v17, v18
	v_lshl_add_u64 v[10:11], v[12:13], 3, v[10:11]
	v_mul_lo_u32 v1, s18, v1
	v_mul_lo_u32 v17, s19, v16
	v_mad_u64_u32 v[12:13], s[6:7], s18, v16, 0
	v_add3_u32 v13, v13, v1, v17
	v_mov_b32_e32 v1, 0
	s_lshl_b64 s[4:5], s[16:17], 9
	v_lshlrev_b64 v[18:19], 3, v[0:1]
	s_lshl_b64 s[6:7], s[18:19], 9
	v_lshl_add_u64 v[12:13], v[12:13], 3, v[18:19]
	s_add_u32 s6, s6, 0xfffffe00
	v_lshl_add_u64 v[8:9], v[8:9], 0, v[12:13]
	s_addc_u32 s7, s7, -1
	v_mov_b64_e32 v[12:13], 0
	s_mov_b64 s[12:13], 0
	s_mov_b64 s[14:15], 0
	s_branch .LBB1_20
.LBB1_19:                               ;   in Loop: Header=BB1_20 Depth=1
	s_or_b64 exec, exec, s[16:17]
	s_add_u32 s14, s14, 0xffffffc0
	v_add3_u32 v1, v0, s14, 64
	s_addc_u32 s15, s15, -1
	v_cmp_gt_u32_e32 vcc, 64, v1
	v_add_u32_e32 v16, 64, v16
	v_lshl_add_u64 v[10:11], v[10:11], 0, s[4:5]
	s_or_b64 s[12:13], vcc, s[12:13]
	v_lshl_add_u64 v[8:9], v[8:9], 0, s[6:7]
	s_andn2_b64 exec, exec, s[12:13]
	s_cbranch_execz .LBB1_22
.LBB1_20:                               ; =>This Inner Loop Header: Depth=1
	v_cmp_gt_i32_e32 vcc, s22, v16
	s_and_saveexec_b64 s[16:17], vcc
	s_cbranch_execz .LBB1_19
; %bb.21:                               ;   in Loop: Header=BB1_20 Depth=1
	flat_load_dwordx2 v[18:19], v[8:9]
	flat_load_dwordx2 v[20:21], v[10:11]
	s_waitcnt vmcnt(0) lgkmcnt(0)
	v_fmac_f64_e32 v[12:13], v[18:19], v[20:21]
	s_branch .LBB1_19
.LBB1_22:
	s_or_b64 exec, exec, s[12:13]
.LBB1_23:
	s_or_b64 exec, exec, s[2:3]
	v_mbcnt_lo_u32_b32 v0, -1, 0
	v_mbcnt_hi_u32_b32 v10, -1, v0
	v_mov_b32_e32 v0, 0x80
	v_lshl_or_b32 v1, v10, 2, v0
	ds_bpermute_b32 v0, v1, v12
	ds_bpermute_b32 v1, v1, v13
	v_and_b32_e32 v11, 63, v10
	v_cmp_gt_u32_e32 vcc, 48, v11
	s_waitcnt lgkmcnt(0)
	s_barrier
	v_cndmask_b32_e64 v8, 0, 16, vcc
	v_add_f64 v[0:1], v[12:13], v[0:1]
	v_add_lshl_u32 v9, v8, v10, 2
	ds_bpermute_b32 v8, v9, v0
	ds_bpermute_b32 v9, v9, v1
	v_cmp_gt_u32_e32 vcc, 56, v11
	s_waitcnt lgkmcnt(0)
	v_add_f64 v[0:1], v[0:1], v[8:9]
	v_cndmask_b32_e64 v8, 0, 8, vcc
	v_add_lshl_u32 v9, v8, v10, 2
	ds_bpermute_b32 v8, v9, v0
	ds_bpermute_b32 v9, v9, v1
	v_cmp_gt_u32_e32 vcc, 60, v11
	s_waitcnt lgkmcnt(0)
	v_add_f64 v[0:1], v[0:1], v[8:9]
	v_cndmask_b32_e64 v8, 0, 4, vcc
	;; [unrolled: 7-line block ×3, first 2 shown]
	v_add_lshl_u32 v9, v8, v10, 2
	ds_bpermute_b32 v8, v9, v0
	ds_bpermute_b32 v9, v9, v1
	v_cmp_ne_u32_e32 vcc, 63, v11
	s_waitcnt lgkmcnt(0)
	v_add_f64 v[0:1], v[0:1], v[8:9]
	v_addc_co_u32_e32 v8, vcc, 0, v10, vcc
	v_lshlrev_b32_e32 v9, 2, v8
	ds_bpermute_b32 v8, v9, v0
	ds_bpermute_b32 v9, v9, v1
	s_waitcnt lgkmcnt(0)
	v_add_f64 v[0:1], v[0:1], v[8:9]
	v_mul_f64 v[12:13], v[4:5], v[0:1]
	s_or_b64 exec, exec, s[0:1]
	v_cmp_eq_u32_e32 vcc, 0, v15
	s_and_b64 exec, exec, vcc
	s_cbranch_execz .LBB1_15
.LBB1_24:
	v_ashrrev_i32_e32 v4, 31, v14
	s_waitcnt vmcnt(0)
	v_lshl_add_u64 v[0:1], s[8:9], 3, v[6:7]
	v_mul_lo_u32 v6, s11, v14
	v_mul_lo_u32 v7, s10, v4
	v_mad_u64_u32 v[4:5], s[0:1], s10, v14, 0
	v_add3_u32 v5, v5, v7, v6
	v_cmp_neq_f64_e32 vcc, 0, v[2:3]
	v_lshl_add_u64 v[0:1], v[4:5], 3, v[0:1]
	s_and_saveexec_b64 s[0:1], vcc
	s_cbranch_execz .LBB1_26
; %bb.25:
	flat_load_dwordx2 v[4:5], v[0:1]
	s_waitcnt vmcnt(0) lgkmcnt(0)
	v_fmac_f64_e32 v[12:13], v[2:3], v[4:5]
.LBB1_26:
	s_or_b64 exec, exec, s[0:1]
	flat_store_dwordx2 v[0:1], v[12:13]
	s_endpgm
	.section	.rodata,"a",@progbits
	.p2align	6, 0x0
	.amdhsa_kernel _ZL20rocblas_gbmvn_kernelILi64ELi16E24rocblas_internal_val_ptrIdEPKPKdPKPdEvbiiiiT1_T2_lllSA_lllS9_T3_llli
		.amdhsa_group_segment_fixed_size 0
		.amdhsa_private_segment_fixed_size 0
		.amdhsa_kernarg_size 140
		.amdhsa_user_sgpr_count 2
		.amdhsa_user_sgpr_dispatch_ptr 0
		.amdhsa_user_sgpr_queue_ptr 0
		.amdhsa_user_sgpr_kernarg_segment_ptr 1
		.amdhsa_user_sgpr_dispatch_id 0
		.amdhsa_user_sgpr_kernarg_preload_length 0
		.amdhsa_user_sgpr_kernarg_preload_offset 0
		.amdhsa_user_sgpr_private_segment_size 0
		.amdhsa_uses_dynamic_stack 0
		.amdhsa_enable_private_segment 0
		.amdhsa_system_sgpr_workgroup_id_x 1
		.amdhsa_system_sgpr_workgroup_id_y 0
		.amdhsa_system_sgpr_workgroup_id_z 1
		.amdhsa_system_sgpr_workgroup_info 0
		.amdhsa_system_vgpr_workitem_id 1
		.amdhsa_next_free_vgpr 22
		.amdhsa_next_free_sgpr 30
		.amdhsa_accum_offset 24
		.amdhsa_reserve_vcc 1
		.amdhsa_float_round_mode_32 0
		.amdhsa_float_round_mode_16_64 0
		.amdhsa_float_denorm_mode_32 3
		.amdhsa_float_denorm_mode_16_64 3
		.amdhsa_dx10_clamp 1
		.amdhsa_ieee_mode 1
		.amdhsa_fp16_overflow 0
		.amdhsa_tg_split 0
		.amdhsa_exception_fp_ieee_invalid_op 0
		.amdhsa_exception_fp_denorm_src 0
		.amdhsa_exception_fp_ieee_div_zero 0
		.amdhsa_exception_fp_ieee_overflow 0
		.amdhsa_exception_fp_ieee_underflow 0
		.amdhsa_exception_fp_ieee_inexact 0
		.amdhsa_exception_int_div_zero 0
	.end_amdhsa_kernel
	.section	.text._ZL20rocblas_gbmvn_kernelILi64ELi16E24rocblas_internal_val_ptrIdEPKPKdPKPdEvbiiiiT1_T2_lllSA_lllS9_T3_llli,"axG",@progbits,_ZL20rocblas_gbmvn_kernelILi64ELi16E24rocblas_internal_val_ptrIdEPKPKdPKPdEvbiiiiT1_T2_lllSA_lllS9_T3_llli,comdat
.Lfunc_end1:
	.size	_ZL20rocblas_gbmvn_kernelILi64ELi16E24rocblas_internal_val_ptrIdEPKPKdPKPdEvbiiiiT1_T2_lllSA_lllS9_T3_llli, .Lfunc_end1-_ZL20rocblas_gbmvn_kernelILi64ELi16E24rocblas_internal_val_ptrIdEPKPKdPKPdEvbiiiiT1_T2_lllSA_lllS9_T3_llli
                                        ; -- End function
	.set _ZL20rocblas_gbmvn_kernelILi64ELi16E24rocblas_internal_val_ptrIdEPKPKdPKPdEvbiiiiT1_T2_lllSA_lllS9_T3_llli.num_vgpr, 22
	.set _ZL20rocblas_gbmvn_kernelILi64ELi16E24rocblas_internal_val_ptrIdEPKPKdPKPdEvbiiiiT1_T2_lllSA_lllS9_T3_llli.num_agpr, 0
	.set _ZL20rocblas_gbmvn_kernelILi64ELi16E24rocblas_internal_val_ptrIdEPKPKdPKPdEvbiiiiT1_T2_lllSA_lllS9_T3_llli.numbered_sgpr, 30
	.set _ZL20rocblas_gbmvn_kernelILi64ELi16E24rocblas_internal_val_ptrIdEPKPKdPKPdEvbiiiiT1_T2_lllSA_lllS9_T3_llli.num_named_barrier, 0
	.set _ZL20rocblas_gbmvn_kernelILi64ELi16E24rocblas_internal_val_ptrIdEPKPKdPKPdEvbiiiiT1_T2_lllSA_lllS9_T3_llli.private_seg_size, 0
	.set _ZL20rocblas_gbmvn_kernelILi64ELi16E24rocblas_internal_val_ptrIdEPKPKdPKPdEvbiiiiT1_T2_lllSA_lllS9_T3_llli.uses_vcc, 1
	.set _ZL20rocblas_gbmvn_kernelILi64ELi16E24rocblas_internal_val_ptrIdEPKPKdPKPdEvbiiiiT1_T2_lllSA_lllS9_T3_llli.uses_flat_scratch, 0
	.set _ZL20rocblas_gbmvn_kernelILi64ELi16E24rocblas_internal_val_ptrIdEPKPKdPKPdEvbiiiiT1_T2_lllSA_lllS9_T3_llli.has_dyn_sized_stack, 0
	.set _ZL20rocblas_gbmvn_kernelILi64ELi16E24rocblas_internal_val_ptrIdEPKPKdPKPdEvbiiiiT1_T2_lllSA_lllS9_T3_llli.has_recursion, 0
	.set _ZL20rocblas_gbmvn_kernelILi64ELi16E24rocblas_internal_val_ptrIdEPKPKdPKPdEvbiiiiT1_T2_lllSA_lllS9_T3_llli.has_indirect_call, 0
	.section	.AMDGPU.csdata,"",@progbits
; Kernel info:
; codeLenInByte = 1144
; TotalNumSgprs: 36
; NumVgprs: 22
; NumAgprs: 0
; TotalNumVgprs: 22
; ScratchSize: 0
; MemoryBound: 1
; FloatMode: 240
; IeeeMode: 1
; LDSByteSize: 0 bytes/workgroup (compile time only)
; SGPRBlocks: 4
; VGPRBlocks: 2
; NumSGPRsForWavesPerEU: 36
; NumVGPRsForWavesPerEU: 22
; AccumOffset: 24
; Occupancy: 8
; WaveLimiterHint : 1
; COMPUTE_PGM_RSRC2:SCRATCH_EN: 0
; COMPUTE_PGM_RSRC2:USER_SGPR: 2
; COMPUTE_PGM_RSRC2:TRAP_HANDLER: 0
; COMPUTE_PGM_RSRC2:TGID_X_EN: 1
; COMPUTE_PGM_RSRC2:TGID_Y_EN: 0
; COMPUTE_PGM_RSRC2:TGID_Z_EN: 1
; COMPUTE_PGM_RSRC2:TIDIG_COMP_CNT: 1
; COMPUTE_PGM_RSRC3_GFX90A:ACCUM_OFFSET: 5
; COMPUTE_PGM_RSRC3_GFX90A:TG_SPLIT: 0
	.section	.text._ZL20rocblas_gbmvt_kernelILi32ELi32E24rocblas_internal_val_ptrIdEPKPKdPKPdEvb18rocblas_operation_iiiiT1_T2_lllSB_lllSA_T3_llli,"axG",@progbits,_ZL20rocblas_gbmvt_kernelILi32ELi32E24rocblas_internal_val_ptrIdEPKPKdPKPdEvb18rocblas_operation_iiiiT1_T2_lllSB_lllSA_T3_llli,comdat
	.globl	_ZL20rocblas_gbmvt_kernelILi32ELi32E24rocblas_internal_val_ptrIdEPKPKdPKPdEvb18rocblas_operation_iiiiT1_T2_lllSB_lllSA_T3_llli ; -- Begin function _ZL20rocblas_gbmvt_kernelILi32ELi32E24rocblas_internal_val_ptrIdEPKPKdPKPdEvb18rocblas_operation_iiiiT1_T2_lllSB_lllSA_T3_llli
	.p2align	8
	.type	_ZL20rocblas_gbmvt_kernelILi32ELi32E24rocblas_internal_val_ptrIdEPKPKdPKPdEvb18rocblas_operation_iiiiT1_T2_lllSB_lllSA_T3_llli,@function
_ZL20rocblas_gbmvt_kernelILi32ELi32E24rocblas_internal_val_ptrIdEPKPKdPKPdEvb18rocblas_operation_iiiiT1_T2_lllSB_lllSA_T3_llli: ; @_ZL20rocblas_gbmvt_kernelILi32ELi32E24rocblas_internal_val_ptrIdEPKPKdPKPdEvb18rocblas_operation_iiiiT1_T2_lllSB_lllSA_T3_llli
; %bb.0:
	s_mov_b32 s20, s3
	s_load_dword s3, s[0:1], 0x0
	s_load_dwordx8 s[12:19], s[0:1], 0x18
	s_load_dwordx8 s[4:11], s[0:1], 0x60
	s_waitcnt lgkmcnt(0)
	s_bitcmp1_b32 s3, 0
	s_cselect_b64 s[24:25], -1, 0
	s_xor_b64 s[22:23], s[24:25], -1
	s_and_b64 vcc, exec, s[24:25]
	v_mov_b64_e32 v[4:5], s[12:13]
	s_cbranch_vccnz .LBB2_2
; %bb.1:
	v_mov_b64_e32 v[2:3], s[12:13]
	flat_load_dwordx2 v[4:5], v[2:3]
.LBB2_2:
	s_andn2_b64 vcc, exec, s[22:23]
	v_mov_b64_e32 v[2:3], s[4:5]
	s_cbranch_vccnz .LBB2_4
; %bb.3:
	v_mov_b64_e32 v[2:3], s[4:5]
	flat_load_dwordx2 v[2:3], v[2:3]
.LBB2_4:
	s_waitcnt vmcnt(0) lgkmcnt(0)
	v_cmp_neq_f64_e32 vcc, 0, v[4:5]
	v_cmp_neq_f64_e64 s[4:5], 1.0, v[2:3]
	s_or_b64 s[4:5], vcc, s[4:5]
	s_and_saveexec_b64 s[12:13], s[4:5]
	s_cbranch_execz .LBB2_26
; %bb.5:
	s_mov_b32 s21, 0
	v_cmp_neq_f64_e32 vcc, 0, v[4:5]
	v_cmp_eq_f64_e64 s[4:5], 0, v[4:5]
	v_mov_b64_e32 v[6:7], s[20:21]
	s_and_saveexec_b64 s[12:13], s[4:5]
	s_xor_b64 s[4:5], exec, s[12:13]
; %bb.6:
	v_mov_b64_e32 v[6:7], s[20:21]
; %bb.7:
	s_or_saveexec_b64 s[4:5], s[4:5]
	v_mov_b64_e32 v[8:9], 0
	v_mov_b64_e32 v[10:11], 0
	s_xor_b64 exec, exec, s[4:5]
	s_cbranch_execz .LBB2_9
; %bb.8:
	s_lshl_b64 s[12:13], s[20:21], 3
	s_add_u32 s12, s14, s12
	s_addc_u32 s13, s15, s13
	s_load_dwordx2 s[12:13], s[12:13], 0x0
	s_lshl_b64 s[14:15], s[16:17], 3
	s_waitcnt lgkmcnt(0)
	s_add_u32 s12, s12, s14
	s_addc_u32 s13, s13, s15
	v_mov_b64_e32 v[10:11], s[12:13]
.LBB2_9:
	s_or_b64 exec, exec, s[4:5]
	s_load_dwordx4 s[12:15], s[0:1], 0x40
	s_load_dwordx2 s[16:17], s[0:1], 0x50
	s_and_saveexec_b64 s[4:5], vcc
	s_cbranch_execz .LBB2_11
; %bb.10:
	s_waitcnt lgkmcnt(0)
	v_mov_b32_e32 v8, s12
	v_mov_b32_e32 v9, s13
	v_lshl_add_u64 v[8:9], v[6:7], 3, v[8:9]
	global_load_dwordx2 v[8:9], v[8:9], off
	s_waitcnt vmcnt(0)
	v_lshl_add_u64 v[8:9], s[14:15], 3, v[8:9]
.LBB2_11:
	s_or_b64 exec, exec, s[4:5]
	s_waitcnt lgkmcnt(0)
	s_load_dwordx4 s[12:15], s[0:1], 0x8
	v_bfe_u32 v1, v0, 10, 10
	v_lshl_add_u32 v12, s2, 5, v1
	s_waitcnt lgkmcnt(0)
	v_cmp_gt_i32_e64 s[0:1], s13, v12
	s_and_b64 exec, exec, s[0:1]
	s_cbranch_execz .LBB2_26
; %bb.12:
	v_mov_b32_e32 v14, s6
	v_mov_b32_e32 v15, s7
	v_lshl_add_u64 v[6:7], v[6:7], 3, v[14:15]
	global_load_dwordx2 v[6:7], v[6:7], off
	v_and_b32_e32 v13, 0x3ff, v0
	v_mov_b64_e32 v[0:1], 0
	s_and_saveexec_b64 s[2:3], vcc
	s_cbranch_execz .LBB2_22
; %bb.13:
	s_add_i32 s13, s15, s14
	v_cmp_ge_i32_e32 vcc, s13, v13
	v_mov_b64_e32 v[0:1], 0
	s_and_saveexec_b64 s[4:5], vcc
	s_cbranch_execz .LBB2_21
; %bb.14:
	v_ashrrev_i32_e32 v16, 31, v12
	v_mul_lo_u32 v14, s19, v12
	v_mul_lo_u32 v15, s18, v16
	v_mad_u64_u32 v[0:1], s[0:1], s18, v12, 0
	v_add3_u32 v1, v1, v15, v14
	v_lshlrev_b32_e32 v14, 3, v13
	v_mov_b32_e32 v15, 0
	v_lshl_add_u64 v[0:1], v[0:1], 3, v[14:15]
	v_sub_u32_e32 v14, s15, v13
	v_lshl_add_u64 v[10:11], v[10:11], 0, v[0:1]
	v_ashrrev_i32_e32 v0, 31, v14
	v_sub_co_u32_e32 v1, vcc, v12, v14
	v_mul_lo_u32 v15, s17, v1
	s_nop 0
	v_subb_co_u32_e32 v0, vcc, v16, v0, vcc
	v_mul_lo_u32 v16, s16, v0
	v_mad_u64_u32 v[0:1], s[0:1], s16, v1, 0
	v_add3_u32 v1, v1, v16, v15
	v_lshl_add_u64 v[8:9], v[0:1], 3, v[8:9]
	s_lshl_b64 s[6:7], s[16:17], 8
	v_mov_b64_e32 v[0:1], 0
	s_mov_b64 s[16:17], 0
	s_mov_b64 s[18:19], 0x100
	v_mov_b32_e32 v15, v13
	s_branch .LBB2_17
.LBB2_15:                               ;   in Loop: Header=BB2_17 Depth=1
	s_or_b64 exec, exec, s[0:1]
.LBB2_16:                               ;   in Loop: Header=BB2_17 Depth=1
	s_or_b64 exec, exec, s[20:21]
	v_add_u32_e32 v15, 32, v15
	v_cmp_lt_i32_e32 vcc, s13, v15
	v_lshl_add_u64 v[10:11], v[10:11], 0, s[18:19]
	v_lshl_add_u64 v[8:9], v[8:9], 0, s[6:7]
	s_or_b64 s[16:17], vcc, s[16:17]
	v_subrev_u32_e32 v14, 32, v14
	s_andn2_b64 exec, exec, s[16:17]
	s_cbranch_execz .LBB2_20
.LBB2_17:                               ; =>This Inner Loop Header: Depth=1
	v_add_u32_e32 v16, s12, v14
	v_cmp_lt_i32_e32 vcc, v12, v16
	s_and_saveexec_b64 s[20:21], vcc
	s_cbranch_execz .LBB2_16
; %bb.18:                               ;   in Loop: Header=BB2_17 Depth=1
	v_cmp_lt_i32_e32 vcc, s15, v15
	v_cmp_ge_i32_e64 s[0:1], v12, v14
	s_or_b64 s[22:23], vcc, s[0:1]
	s_and_saveexec_b64 s[0:1], s[22:23]
	s_cbranch_execz .LBB2_15
; %bb.19:                               ;   in Loop: Header=BB2_17 Depth=1
	flat_load_dwordx2 v[16:17], v[10:11]
	flat_load_dwordx2 v[18:19], v[8:9]
	s_waitcnt vmcnt(0) lgkmcnt(0)
	v_fmac_f64_e32 v[0:1], v[16:17], v[18:19]
	s_branch .LBB2_15
.LBB2_20:
	s_or_b64 exec, exec, s[16:17]
.LBB2_21:
	s_or_b64 exec, exec, s[4:5]
	v_mbcnt_lo_u32_b32 v8, -1, 0
	v_mbcnt_hi_u32_b32 v10, -1, v8
	v_and_b32_e32 v11, 63, v10
	v_cmp_gt_u32_e32 vcc, 48, v11
	s_barrier
	s_nop 0
	v_cndmask_b32_e64 v8, 0, 16, vcc
	v_add_lshl_u32 v9, v8, v10, 2
	ds_bpermute_b32 v8, v9, v0
	ds_bpermute_b32 v9, v9, v1
	v_cmp_gt_u32_e32 vcc, 56, v11
	s_waitcnt lgkmcnt(0)
	v_add_f64 v[0:1], v[0:1], v[8:9]
	v_cndmask_b32_e64 v14, 0, 8, vcc
	v_add_lshl_u32 v9, v14, v10, 2
	ds_bpermute_b32 v8, v9, v0
	ds_bpermute_b32 v9, v9, v1
	v_cmp_gt_u32_e32 vcc, 60, v11
	s_waitcnt lgkmcnt(0)
	v_add_f64 v[0:1], v[0:1], v[8:9]
	v_cndmask_b32_e64 v14, 0, 4, vcc
	v_add_lshl_u32 v9, v14, v10, 2
	ds_bpermute_b32 v8, v9, v0
	ds_bpermute_b32 v9, v9, v1
	v_cmp_gt_u32_e32 vcc, 62, v11
	s_waitcnt lgkmcnt(0)
	v_add_f64 v[0:1], v[0:1], v[8:9]
	v_cndmask_b32_e64 v14, 0, 2, vcc
	v_add_lshl_u32 v9, v14, v10, 2
	ds_bpermute_b32 v8, v9, v0
	ds_bpermute_b32 v9, v9, v1
	v_cmp_ne_u32_e32 vcc, 63, v11
	s_waitcnt lgkmcnt(0)
	v_add_f64 v[0:1], v[0:1], v[8:9]
	v_addc_co_u32_e32 v8, vcc, 0, v10, vcc
	v_lshlrev_b32_e32 v9, 2, v8
	ds_bpermute_b32 v8, v9, v0
	ds_bpermute_b32 v9, v9, v1
	s_waitcnt lgkmcnt(0)
	v_add_f64 v[0:1], v[0:1], v[8:9]
	v_mul_f64 v[0:1], v[4:5], v[0:1]
.LBB2_22:
	s_or_b64 exec, exec, s[2:3]
	v_cmp_eq_u32_e32 vcc, 0, v13
	s_and_b64 exec, exec, vcc
	s_cbranch_execz .LBB2_26
; %bb.23:
	s_waitcnt vmcnt(0)
	v_lshl_add_u64 v[4:5], s[8:9], 3, v[6:7]
	v_ashrrev_i32_e32 v6, 31, v12
	v_mul_lo_u32 v8, s11, v12
	v_mul_lo_u32 v9, s10, v6
	v_mad_u64_u32 v[6:7], s[0:1], s10, v12, 0
	v_add3_u32 v7, v7, v9, v8
	v_cmp_neq_f64_e32 vcc, 0, v[2:3]
	v_lshl_add_u64 v[4:5], v[6:7], 3, v[4:5]
	s_and_saveexec_b64 s[0:1], vcc
	s_cbranch_execz .LBB2_25
; %bb.24:
	flat_load_dwordx2 v[6:7], v[4:5]
	s_waitcnt vmcnt(0) lgkmcnt(0)
	v_fmac_f64_e32 v[0:1], v[2:3], v[6:7]
.LBB2_25:
	s_or_b64 exec, exec, s[0:1]
	flat_store_dwordx2 v[4:5], v[0:1]
.LBB2_26:
	s_endpgm
	.section	.rodata,"a",@progbits
	.p2align	6, 0x0
	.amdhsa_kernel _ZL20rocblas_gbmvt_kernelILi32ELi32E24rocblas_internal_val_ptrIdEPKPKdPKPdEvb18rocblas_operation_iiiiT1_T2_lllSB_lllSA_T3_llli
		.amdhsa_group_segment_fixed_size 0
		.amdhsa_private_segment_fixed_size 0
		.amdhsa_kernarg_size 140
		.amdhsa_user_sgpr_count 2
		.amdhsa_user_sgpr_dispatch_ptr 0
		.amdhsa_user_sgpr_queue_ptr 0
		.amdhsa_user_sgpr_kernarg_segment_ptr 1
		.amdhsa_user_sgpr_dispatch_id 0
		.amdhsa_user_sgpr_kernarg_preload_length 0
		.amdhsa_user_sgpr_kernarg_preload_offset 0
		.amdhsa_user_sgpr_private_segment_size 0
		.amdhsa_uses_dynamic_stack 0
		.amdhsa_enable_private_segment 0
		.amdhsa_system_sgpr_workgroup_id_x 1
		.amdhsa_system_sgpr_workgroup_id_y 0
		.amdhsa_system_sgpr_workgroup_id_z 1
		.amdhsa_system_sgpr_workgroup_info 0
		.amdhsa_system_vgpr_workitem_id 1
		.amdhsa_next_free_vgpr 20
		.amdhsa_next_free_sgpr 26
		.amdhsa_accum_offset 20
		.amdhsa_reserve_vcc 1
		.amdhsa_float_round_mode_32 0
		.amdhsa_float_round_mode_16_64 0
		.amdhsa_float_denorm_mode_32 3
		.amdhsa_float_denorm_mode_16_64 3
		.amdhsa_dx10_clamp 1
		.amdhsa_ieee_mode 1
		.amdhsa_fp16_overflow 0
		.amdhsa_tg_split 0
		.amdhsa_exception_fp_ieee_invalid_op 0
		.amdhsa_exception_fp_denorm_src 0
		.amdhsa_exception_fp_ieee_div_zero 0
		.amdhsa_exception_fp_ieee_overflow 0
		.amdhsa_exception_fp_ieee_underflow 0
		.amdhsa_exception_fp_ieee_inexact 0
		.amdhsa_exception_int_div_zero 0
	.end_amdhsa_kernel
	.section	.text._ZL20rocblas_gbmvt_kernelILi32ELi32E24rocblas_internal_val_ptrIdEPKPKdPKPdEvb18rocblas_operation_iiiiT1_T2_lllSB_lllSA_T3_llli,"axG",@progbits,_ZL20rocblas_gbmvt_kernelILi32ELi32E24rocblas_internal_val_ptrIdEPKPKdPKPdEvb18rocblas_operation_iiiiT1_T2_lllSB_lllSA_T3_llli,comdat
.Lfunc_end2:
	.size	_ZL20rocblas_gbmvt_kernelILi32ELi32E24rocblas_internal_val_ptrIdEPKPKdPKPdEvb18rocblas_operation_iiiiT1_T2_lllSB_lllSA_T3_llli, .Lfunc_end2-_ZL20rocblas_gbmvt_kernelILi32ELi32E24rocblas_internal_val_ptrIdEPKPKdPKPdEvb18rocblas_operation_iiiiT1_T2_lllSB_lllSA_T3_llli
                                        ; -- End function
	.set _ZL20rocblas_gbmvt_kernelILi32ELi32E24rocblas_internal_val_ptrIdEPKPKdPKPdEvb18rocblas_operation_iiiiT1_T2_lllSB_lllSA_T3_llli.num_vgpr, 20
	.set _ZL20rocblas_gbmvt_kernelILi32ELi32E24rocblas_internal_val_ptrIdEPKPKdPKPdEvb18rocblas_operation_iiiiT1_T2_lllSB_lllSA_T3_llli.num_agpr, 0
	.set _ZL20rocblas_gbmvt_kernelILi32ELi32E24rocblas_internal_val_ptrIdEPKPKdPKPdEvb18rocblas_operation_iiiiT1_T2_lllSB_lllSA_T3_llli.numbered_sgpr, 26
	.set _ZL20rocblas_gbmvt_kernelILi32ELi32E24rocblas_internal_val_ptrIdEPKPKdPKPdEvb18rocblas_operation_iiiiT1_T2_lllSB_lllSA_T3_llli.num_named_barrier, 0
	.set _ZL20rocblas_gbmvt_kernelILi32ELi32E24rocblas_internal_val_ptrIdEPKPKdPKPdEvb18rocblas_operation_iiiiT1_T2_lllSB_lllSA_T3_llli.private_seg_size, 0
	.set _ZL20rocblas_gbmvt_kernelILi32ELi32E24rocblas_internal_val_ptrIdEPKPKdPKPdEvb18rocblas_operation_iiiiT1_T2_lllSB_lllSA_T3_llli.uses_vcc, 1
	.set _ZL20rocblas_gbmvt_kernelILi32ELi32E24rocblas_internal_val_ptrIdEPKPKdPKPdEvb18rocblas_operation_iiiiT1_T2_lllSB_lllSA_T3_llli.uses_flat_scratch, 0
	.set _ZL20rocblas_gbmvt_kernelILi32ELi32E24rocblas_internal_val_ptrIdEPKPKdPKPdEvb18rocblas_operation_iiiiT1_T2_lllSB_lllSA_T3_llli.has_dyn_sized_stack, 0
	.set _ZL20rocblas_gbmvt_kernelILi32ELi32E24rocblas_internal_val_ptrIdEPKPKdPKPdEvb18rocblas_operation_iiiiT1_T2_lllSB_lllSA_T3_llli.has_recursion, 0
	.set _ZL20rocblas_gbmvt_kernelILi32ELi32E24rocblas_internal_val_ptrIdEPKPKdPKPdEvb18rocblas_operation_iiiiT1_T2_lllSB_lllSA_T3_llli.has_indirect_call, 0
	.section	.AMDGPU.csdata,"",@progbits
; Kernel info:
; codeLenInByte = 1052
; TotalNumSgprs: 32
; NumVgprs: 20
; NumAgprs: 0
; TotalNumVgprs: 20
; ScratchSize: 0
; MemoryBound: 1
; FloatMode: 240
; IeeeMode: 1
; LDSByteSize: 0 bytes/workgroup (compile time only)
; SGPRBlocks: 3
; VGPRBlocks: 2
; NumSGPRsForWavesPerEU: 32
; NumVGPRsForWavesPerEU: 20
; AccumOffset: 20
; Occupancy: 8
; WaveLimiterHint : 1
; COMPUTE_PGM_RSRC2:SCRATCH_EN: 0
; COMPUTE_PGM_RSRC2:USER_SGPR: 2
; COMPUTE_PGM_RSRC2:TRAP_HANDLER: 0
; COMPUTE_PGM_RSRC2:TGID_X_EN: 1
; COMPUTE_PGM_RSRC2:TGID_Y_EN: 0
; COMPUTE_PGM_RSRC2:TGID_Z_EN: 1
; COMPUTE_PGM_RSRC2:TIDIG_COMP_CNT: 1
; COMPUTE_PGM_RSRC3_GFX90A:ACCUM_OFFSET: 4
; COMPUTE_PGM_RSRC3_GFX90A:TG_SPLIT: 0
	.section	.text._ZL20rocblas_gbmvt_kernelILi64ELi16E24rocblas_internal_val_ptrIdEPKPKdPKPdEvb18rocblas_operation_iiiiT1_T2_lllSB_lllSA_T3_llli,"axG",@progbits,_ZL20rocblas_gbmvt_kernelILi64ELi16E24rocblas_internal_val_ptrIdEPKPKdPKPdEvb18rocblas_operation_iiiiT1_T2_lllSB_lllSA_T3_llli,comdat
	.globl	_ZL20rocblas_gbmvt_kernelILi64ELi16E24rocblas_internal_val_ptrIdEPKPKdPKPdEvb18rocblas_operation_iiiiT1_T2_lllSB_lllSA_T3_llli ; -- Begin function _ZL20rocblas_gbmvt_kernelILi64ELi16E24rocblas_internal_val_ptrIdEPKPKdPKPdEvb18rocblas_operation_iiiiT1_T2_lllSB_lllSA_T3_llli
	.p2align	8
	.type	_ZL20rocblas_gbmvt_kernelILi64ELi16E24rocblas_internal_val_ptrIdEPKPKdPKPdEvb18rocblas_operation_iiiiT1_T2_lllSB_lllSA_T3_llli,@function
_ZL20rocblas_gbmvt_kernelILi64ELi16E24rocblas_internal_val_ptrIdEPKPKdPKPdEvb18rocblas_operation_iiiiT1_T2_lllSB_lllSA_T3_llli: ; @_ZL20rocblas_gbmvt_kernelILi64ELi16E24rocblas_internal_val_ptrIdEPKPKdPKPdEvb18rocblas_operation_iiiiT1_T2_lllSB_lllSA_T3_llli
; %bb.0:
	s_mov_b32 s20, s3
	s_load_dword s3, s[0:1], 0x0
	s_load_dwordx8 s[12:19], s[0:1], 0x18
	s_load_dwordx8 s[4:11], s[0:1], 0x60
	s_waitcnt lgkmcnt(0)
	s_bitcmp1_b32 s3, 0
	s_cselect_b64 s[24:25], -1, 0
	s_xor_b64 s[22:23], s[24:25], -1
	s_and_b64 vcc, exec, s[24:25]
	v_mov_b64_e32 v[4:5], s[12:13]
	s_cbranch_vccnz .LBB3_2
; %bb.1:
	v_mov_b64_e32 v[2:3], s[12:13]
	flat_load_dwordx2 v[4:5], v[2:3]
.LBB3_2:
	s_andn2_b64 vcc, exec, s[22:23]
	v_mov_b64_e32 v[2:3], s[4:5]
	s_cbranch_vccnz .LBB3_4
; %bb.3:
	v_mov_b64_e32 v[2:3], s[4:5]
	flat_load_dwordx2 v[2:3], v[2:3]
.LBB3_4:
	s_waitcnt vmcnt(0) lgkmcnt(0)
	v_cmp_neq_f64_e32 vcc, 0, v[4:5]
	v_cmp_neq_f64_e64 s[4:5], 1.0, v[2:3]
	s_or_b64 s[4:5], vcc, s[4:5]
	s_and_saveexec_b64 s[12:13], s[4:5]
	s_cbranch_execz .LBB3_26
; %bb.5:
	s_mov_b32 s21, 0
	v_cmp_neq_f64_e32 vcc, 0, v[4:5]
	v_cmp_eq_f64_e64 s[4:5], 0, v[4:5]
	v_mov_b64_e32 v[6:7], s[20:21]
	s_and_saveexec_b64 s[12:13], s[4:5]
	s_xor_b64 s[4:5], exec, s[12:13]
; %bb.6:
	v_mov_b64_e32 v[6:7], s[20:21]
; %bb.7:
	s_or_saveexec_b64 s[4:5], s[4:5]
	v_mov_b64_e32 v[8:9], 0
	v_mov_b64_e32 v[10:11], 0
	s_xor_b64 exec, exec, s[4:5]
	s_cbranch_execz .LBB3_9
; %bb.8:
	s_lshl_b64 s[12:13], s[20:21], 3
	s_add_u32 s12, s14, s12
	s_addc_u32 s13, s15, s13
	s_load_dwordx2 s[12:13], s[12:13], 0x0
	s_lshl_b64 s[14:15], s[16:17], 3
	s_waitcnt lgkmcnt(0)
	s_add_u32 s12, s12, s14
	s_addc_u32 s13, s13, s15
	v_mov_b64_e32 v[10:11], s[12:13]
.LBB3_9:
	s_or_b64 exec, exec, s[4:5]
	s_load_dwordx4 s[12:15], s[0:1], 0x40
	s_load_dwordx2 s[16:17], s[0:1], 0x50
	s_and_saveexec_b64 s[4:5], vcc
	s_cbranch_execz .LBB3_11
; %bb.10:
	s_waitcnt lgkmcnt(0)
	v_mov_b32_e32 v8, s12
	v_mov_b32_e32 v9, s13
	v_lshl_add_u64 v[8:9], v[6:7], 3, v[8:9]
	global_load_dwordx2 v[8:9], v[8:9], off
	s_waitcnt vmcnt(0)
	v_lshl_add_u64 v[8:9], s[14:15], 3, v[8:9]
.LBB3_11:
	s_or_b64 exec, exec, s[4:5]
	s_waitcnt lgkmcnt(0)
	s_load_dwordx4 s[12:15], s[0:1], 0x8
	v_bfe_u32 v1, v0, 10, 10
	v_lshl_add_u32 v12, s2, 4, v1
	s_waitcnt lgkmcnt(0)
	v_cmp_gt_i32_e64 s[0:1], s13, v12
	s_and_b64 exec, exec, s[0:1]
	s_cbranch_execz .LBB3_26
; %bb.12:
	v_mov_b32_e32 v14, s6
	v_mov_b32_e32 v15, s7
	v_lshl_add_u64 v[6:7], v[6:7], 3, v[14:15]
	global_load_dwordx2 v[6:7], v[6:7], off
	v_and_b32_e32 v13, 0x3ff, v0
	v_mov_b64_e32 v[0:1], 0
	s_and_saveexec_b64 s[2:3], vcc
	s_cbranch_execz .LBB3_22
; %bb.13:
	s_add_i32 s13, s15, s14
	v_cmp_ge_i32_e32 vcc, s13, v13
	v_mov_b64_e32 v[0:1], 0
	s_and_saveexec_b64 s[4:5], vcc
	s_cbranch_execz .LBB3_21
; %bb.14:
	v_ashrrev_i32_e32 v16, 31, v12
	v_mul_lo_u32 v14, s19, v12
	v_mul_lo_u32 v15, s18, v16
	v_mad_u64_u32 v[0:1], s[0:1], s18, v12, 0
	v_add3_u32 v1, v1, v15, v14
	v_lshlrev_b32_e32 v14, 3, v13
	v_mov_b32_e32 v15, 0
	v_lshl_add_u64 v[0:1], v[0:1], 3, v[14:15]
	v_sub_u32_e32 v14, s15, v13
	v_lshl_add_u64 v[10:11], v[10:11], 0, v[0:1]
	v_ashrrev_i32_e32 v0, 31, v14
	v_sub_co_u32_e32 v1, vcc, v12, v14
	v_mul_lo_u32 v15, s17, v1
	s_nop 0
	v_subb_co_u32_e32 v0, vcc, v16, v0, vcc
	v_mul_lo_u32 v16, s16, v0
	v_mad_u64_u32 v[0:1], s[0:1], s16, v1, 0
	v_add3_u32 v1, v1, v16, v15
	v_lshl_add_u64 v[8:9], v[0:1], 3, v[8:9]
	s_lshl_b64 s[6:7], s[16:17], 9
	v_mov_b64_e32 v[0:1], 0
	s_mov_b64 s[16:17], 0
	s_mov_b64 s[18:19], 0x200
	v_mov_b32_e32 v15, v13
	s_branch .LBB3_17
.LBB3_15:                               ;   in Loop: Header=BB3_17 Depth=1
	s_or_b64 exec, exec, s[0:1]
.LBB3_16:                               ;   in Loop: Header=BB3_17 Depth=1
	s_or_b64 exec, exec, s[20:21]
	v_add_u32_e32 v15, 64, v15
	v_cmp_lt_i32_e32 vcc, s13, v15
	v_lshl_add_u64 v[10:11], v[10:11], 0, s[18:19]
	v_lshl_add_u64 v[8:9], v[8:9], 0, s[6:7]
	s_or_b64 s[16:17], vcc, s[16:17]
	v_subrev_u32_e32 v14, 64, v14
	s_andn2_b64 exec, exec, s[16:17]
	s_cbranch_execz .LBB3_20
.LBB3_17:                               ; =>This Inner Loop Header: Depth=1
	v_add_u32_e32 v16, s12, v14
	v_cmp_lt_i32_e32 vcc, v12, v16
	s_and_saveexec_b64 s[20:21], vcc
	s_cbranch_execz .LBB3_16
; %bb.18:                               ;   in Loop: Header=BB3_17 Depth=1
	v_cmp_lt_i32_e32 vcc, s15, v15
	v_cmp_ge_i32_e64 s[0:1], v12, v14
	s_or_b64 s[22:23], vcc, s[0:1]
	s_and_saveexec_b64 s[0:1], s[22:23]
	s_cbranch_execz .LBB3_15
; %bb.19:                               ;   in Loop: Header=BB3_17 Depth=1
	flat_load_dwordx2 v[16:17], v[10:11]
	flat_load_dwordx2 v[18:19], v[8:9]
	s_waitcnt vmcnt(0) lgkmcnt(0)
	v_fmac_f64_e32 v[0:1], v[16:17], v[18:19]
	s_branch .LBB3_15
.LBB3_20:
	s_or_b64 exec, exec, s[16:17]
.LBB3_21:
	s_or_b64 exec, exec, s[4:5]
	v_mbcnt_lo_u32_b32 v8, -1, 0
	v_mbcnt_hi_u32_b32 v10, -1, v8
	v_mov_b32_e32 v8, 0x80
	v_lshl_or_b32 v9, v10, 2, v8
	ds_bpermute_b32 v8, v9, v0
	ds_bpermute_b32 v9, v9, v1
	v_and_b32_e32 v11, 63, v10
	v_cmp_gt_u32_e32 vcc, 48, v11
	s_waitcnt lgkmcnt(0)
	s_barrier
	v_add_f64 v[0:1], v[0:1], v[8:9]
	v_cndmask_b32_e64 v8, 0, 16, vcc
	v_add_lshl_u32 v9, v8, v10, 2
	ds_bpermute_b32 v8, v9, v0
	ds_bpermute_b32 v9, v9, v1
	v_cmp_gt_u32_e32 vcc, 56, v11
	s_waitcnt lgkmcnt(0)
	v_add_f64 v[0:1], v[0:1], v[8:9]
	v_cndmask_b32_e64 v8, 0, 8, vcc
	v_add_lshl_u32 v9, v8, v10, 2
	ds_bpermute_b32 v8, v9, v0
	ds_bpermute_b32 v9, v9, v1
	v_cmp_gt_u32_e32 vcc, 60, v11
	s_waitcnt lgkmcnt(0)
	;; [unrolled: 7-line block ×3, first 2 shown]
	v_add_f64 v[0:1], v[0:1], v[8:9]
	v_cndmask_b32_e64 v8, 0, 2, vcc
	v_add_lshl_u32 v9, v8, v10, 2
	ds_bpermute_b32 v8, v9, v0
	ds_bpermute_b32 v9, v9, v1
	v_cmp_ne_u32_e32 vcc, 63, v11
	s_waitcnt lgkmcnt(0)
	v_add_f64 v[0:1], v[0:1], v[8:9]
	v_addc_co_u32_e32 v8, vcc, 0, v10, vcc
	v_lshlrev_b32_e32 v9, 2, v8
	ds_bpermute_b32 v8, v9, v0
	ds_bpermute_b32 v9, v9, v1
	s_waitcnt lgkmcnt(0)
	v_add_f64 v[0:1], v[0:1], v[8:9]
	v_mul_f64 v[0:1], v[4:5], v[0:1]
.LBB3_22:
	s_or_b64 exec, exec, s[2:3]
	v_cmp_eq_u32_e32 vcc, 0, v13
	s_and_b64 exec, exec, vcc
	s_cbranch_execz .LBB3_26
; %bb.23:
	s_waitcnt vmcnt(0)
	v_lshl_add_u64 v[4:5], s[8:9], 3, v[6:7]
	v_ashrrev_i32_e32 v6, 31, v12
	v_mul_lo_u32 v8, s11, v12
	v_mul_lo_u32 v9, s10, v6
	v_mad_u64_u32 v[6:7], s[0:1], s10, v12, 0
	v_add3_u32 v7, v7, v9, v8
	v_cmp_neq_f64_e32 vcc, 0, v[2:3]
	v_lshl_add_u64 v[4:5], v[6:7], 3, v[4:5]
	s_and_saveexec_b64 s[0:1], vcc
	s_cbranch_execz .LBB3_25
; %bb.24:
	flat_load_dwordx2 v[6:7], v[4:5]
	s_waitcnt vmcnt(0) lgkmcnt(0)
	v_fmac_f64_e32 v[0:1], v[2:3], v[6:7]
.LBB3_25:
	s_or_b64 exec, exec, s[0:1]
	flat_store_dwordx2 v[4:5], v[0:1]
.LBB3_26:
	s_endpgm
	.section	.rodata,"a",@progbits
	.p2align	6, 0x0
	.amdhsa_kernel _ZL20rocblas_gbmvt_kernelILi64ELi16E24rocblas_internal_val_ptrIdEPKPKdPKPdEvb18rocblas_operation_iiiiT1_T2_lllSB_lllSA_T3_llli
		.amdhsa_group_segment_fixed_size 0
		.amdhsa_private_segment_fixed_size 0
		.amdhsa_kernarg_size 140
		.amdhsa_user_sgpr_count 2
		.amdhsa_user_sgpr_dispatch_ptr 0
		.amdhsa_user_sgpr_queue_ptr 0
		.amdhsa_user_sgpr_kernarg_segment_ptr 1
		.amdhsa_user_sgpr_dispatch_id 0
		.amdhsa_user_sgpr_kernarg_preload_length 0
		.amdhsa_user_sgpr_kernarg_preload_offset 0
		.amdhsa_user_sgpr_private_segment_size 0
		.amdhsa_uses_dynamic_stack 0
		.amdhsa_enable_private_segment 0
		.amdhsa_system_sgpr_workgroup_id_x 1
		.amdhsa_system_sgpr_workgroup_id_y 0
		.amdhsa_system_sgpr_workgroup_id_z 1
		.amdhsa_system_sgpr_workgroup_info 0
		.amdhsa_system_vgpr_workitem_id 1
		.amdhsa_next_free_vgpr 20
		.amdhsa_next_free_sgpr 26
		.amdhsa_accum_offset 20
		.amdhsa_reserve_vcc 1
		.amdhsa_float_round_mode_32 0
		.amdhsa_float_round_mode_16_64 0
		.amdhsa_float_denorm_mode_32 3
		.amdhsa_float_denorm_mode_16_64 3
		.amdhsa_dx10_clamp 1
		.amdhsa_ieee_mode 1
		.amdhsa_fp16_overflow 0
		.amdhsa_tg_split 0
		.amdhsa_exception_fp_ieee_invalid_op 0
		.amdhsa_exception_fp_denorm_src 0
		.amdhsa_exception_fp_ieee_div_zero 0
		.amdhsa_exception_fp_ieee_overflow 0
		.amdhsa_exception_fp_ieee_underflow 0
		.amdhsa_exception_fp_ieee_inexact 0
		.amdhsa_exception_int_div_zero 0
	.end_amdhsa_kernel
	.section	.text._ZL20rocblas_gbmvt_kernelILi64ELi16E24rocblas_internal_val_ptrIdEPKPKdPKPdEvb18rocblas_operation_iiiiT1_T2_lllSB_lllSA_T3_llli,"axG",@progbits,_ZL20rocblas_gbmvt_kernelILi64ELi16E24rocblas_internal_val_ptrIdEPKPKdPKPdEvb18rocblas_operation_iiiiT1_T2_lllSB_lllSA_T3_llli,comdat
.Lfunc_end3:
	.size	_ZL20rocblas_gbmvt_kernelILi64ELi16E24rocblas_internal_val_ptrIdEPKPKdPKPdEvb18rocblas_operation_iiiiT1_T2_lllSB_lllSA_T3_llli, .Lfunc_end3-_ZL20rocblas_gbmvt_kernelILi64ELi16E24rocblas_internal_val_ptrIdEPKPKdPKPdEvb18rocblas_operation_iiiiT1_T2_lllSB_lllSA_T3_llli
                                        ; -- End function
	.set _ZL20rocblas_gbmvt_kernelILi64ELi16E24rocblas_internal_val_ptrIdEPKPKdPKPdEvb18rocblas_operation_iiiiT1_T2_lllSB_lllSA_T3_llli.num_vgpr, 20
	.set _ZL20rocblas_gbmvt_kernelILi64ELi16E24rocblas_internal_val_ptrIdEPKPKdPKPdEvb18rocblas_operation_iiiiT1_T2_lllSB_lllSA_T3_llli.num_agpr, 0
	.set _ZL20rocblas_gbmvt_kernelILi64ELi16E24rocblas_internal_val_ptrIdEPKPKdPKPdEvb18rocblas_operation_iiiiT1_T2_lllSB_lllSA_T3_llli.numbered_sgpr, 26
	.set _ZL20rocblas_gbmvt_kernelILi64ELi16E24rocblas_internal_val_ptrIdEPKPKdPKPdEvb18rocblas_operation_iiiiT1_T2_lllSB_lllSA_T3_llli.num_named_barrier, 0
	.set _ZL20rocblas_gbmvt_kernelILi64ELi16E24rocblas_internal_val_ptrIdEPKPKdPKPdEvb18rocblas_operation_iiiiT1_T2_lllSB_lllSA_T3_llli.private_seg_size, 0
	.set _ZL20rocblas_gbmvt_kernelILi64ELi16E24rocblas_internal_val_ptrIdEPKPKdPKPdEvb18rocblas_operation_iiiiT1_T2_lllSB_lllSA_T3_llli.uses_vcc, 1
	.set _ZL20rocblas_gbmvt_kernelILi64ELi16E24rocblas_internal_val_ptrIdEPKPKdPKPdEvb18rocblas_operation_iiiiT1_T2_lllSB_lllSA_T3_llli.uses_flat_scratch, 0
	.set _ZL20rocblas_gbmvt_kernelILi64ELi16E24rocblas_internal_val_ptrIdEPKPKdPKPdEvb18rocblas_operation_iiiiT1_T2_lllSB_lllSA_T3_llli.has_dyn_sized_stack, 0
	.set _ZL20rocblas_gbmvt_kernelILi64ELi16E24rocblas_internal_val_ptrIdEPKPKdPKPdEvb18rocblas_operation_iiiiT1_T2_lllSB_lllSA_T3_llli.has_recursion, 0
	.set _ZL20rocblas_gbmvt_kernelILi64ELi16E24rocblas_internal_val_ptrIdEPKPKdPKPdEvb18rocblas_operation_iiiiT1_T2_lllSB_lllSA_T3_llli.has_indirect_call, 0
	.section	.AMDGPU.csdata,"",@progbits
; Kernel info:
; codeLenInByte = 1092
; TotalNumSgprs: 32
; NumVgprs: 20
; NumAgprs: 0
; TotalNumVgprs: 20
; ScratchSize: 0
; MemoryBound: 1
; FloatMode: 240
; IeeeMode: 1
; LDSByteSize: 0 bytes/workgroup (compile time only)
; SGPRBlocks: 3
; VGPRBlocks: 2
; NumSGPRsForWavesPerEU: 32
; NumVGPRsForWavesPerEU: 20
; AccumOffset: 20
; Occupancy: 8
; WaveLimiterHint : 1
; COMPUTE_PGM_RSRC2:SCRATCH_EN: 0
; COMPUTE_PGM_RSRC2:USER_SGPR: 2
; COMPUTE_PGM_RSRC2:TRAP_HANDLER: 0
; COMPUTE_PGM_RSRC2:TGID_X_EN: 1
; COMPUTE_PGM_RSRC2:TGID_Y_EN: 0
; COMPUTE_PGM_RSRC2:TGID_Z_EN: 1
; COMPUTE_PGM_RSRC2:TIDIG_COMP_CNT: 1
; COMPUTE_PGM_RSRC3_GFX90A:ACCUM_OFFSET: 4
; COMPUTE_PGM_RSRC3_GFX90A:TG_SPLIT: 0
	.section	.text._ZL20rocblas_gbmvn_kernelILi32ELi32E24rocblas_internal_val_ptrI19rocblas_complex_numIfEEPKPKS2_PKPS2_EvbiiiiT1_T2_lllSC_lllSB_T3_llli,"axG",@progbits,_ZL20rocblas_gbmvn_kernelILi32ELi32E24rocblas_internal_val_ptrI19rocblas_complex_numIfEEPKPKS2_PKPS2_EvbiiiiT1_T2_lllSC_lllSB_T3_llli,comdat
	.globl	_ZL20rocblas_gbmvn_kernelILi32ELi32E24rocblas_internal_val_ptrI19rocblas_complex_numIfEEPKPKS2_PKPS2_EvbiiiiT1_T2_lllSC_lllSB_T3_llli ; -- Begin function _ZL20rocblas_gbmvn_kernelILi32ELi32E24rocblas_internal_val_ptrI19rocblas_complex_numIfEEPKPKS2_PKPS2_EvbiiiiT1_T2_lllSC_lllSB_T3_llli
	.p2align	8
	.type	_ZL20rocblas_gbmvn_kernelILi32ELi32E24rocblas_internal_val_ptrI19rocblas_complex_numIfEEPKPKS2_PKPS2_EvbiiiiT1_T2_lllSC_lllSB_T3_llli,@function
_ZL20rocblas_gbmvn_kernelILi32ELi32E24rocblas_internal_val_ptrI19rocblas_complex_numIfEEPKPKS2_PKPS2_EvbiiiiT1_T2_lllSC_lllSB_T3_llli: ; @_ZL20rocblas_gbmvn_kernelILi32ELi32E24rocblas_internal_val_ptrI19rocblas_complex_numIfEEPKPKS2_PKPS2_EvbiiiiT1_T2_lllSC_lllSB_T3_llli
; %bb.0:
	s_load_dwordx4 s[20:23], s[0:1], 0x0
	s_load_dwordx8 s[12:19], s[0:1], 0x18
	s_mov_b32 s28, s3
	s_mov_b64 s[30:31], -1
                                        ; implicit-def: $sgpr26_sgpr27
	s_waitcnt lgkmcnt(0)
	s_bitcmp1_b32 s20, 0
	s_cselect_b64 s[4:5], -1, 0
	s_xor_b64 s[24:25], s[4:5], -1
	s_and_b64 vcc, exec, s[24:25]
	s_cbranch_vccnz .LBB4_4
; %bb.1:
	s_load_dwordx8 s[4:11], s[0:1], 0x60
	s_andn2_b64 vcc, exec, s[30:31]
	s_cbranch_vccz .LBB4_5
.LBB4_2:
	s_and_b64 vcc, exec, s[24:25]
	s_cbranch_vccz .LBB4_6
.LBB4_3:
	s_waitcnt lgkmcnt(0)
	s_load_dwordx2 s[24:25], s[4:5], 0x0
	s_cbranch_execz .LBB4_7
	s_branch .LBB4_8
.LBB4_4:
	s_load_dwordx2 s[26:27], s[12:13], 0x0
	s_load_dwordx8 s[4:11], s[0:1], 0x60
	s_cbranch_execnz .LBB4_2
.LBB4_5:
	s_waitcnt lgkmcnt(0)
	s_mov_b64 s[26:27], s[12:13]
	s_and_b64 vcc, exec, s[24:25]
	s_cbranch_vccnz .LBB4_3
.LBB4_6:
                                        ; implicit-def: $sgpr24_sgpr25
.LBB4_7:
	s_waitcnt lgkmcnt(0)
	s_mov_b64 s[24:25], s[4:5]
.LBB4_8:
	s_waitcnt lgkmcnt(0)
	s_or_b32 s3, s26, s27
	s_bitset0_b32 s3, 31
	s_cmp_lg_u32 s3, 0
	s_cselect_b64 s[34:35], -1, 0
	s_cmp_eq_u32 s3, 0
	s_cselect_b64 s[4:5], -1, 0
	s_mov_b64 s[12:13], -1
	s_and_b64 vcc, exec, s[34:35]
	s_cbranch_vccnz .LBB4_10
; %bb.9:
	s_and_b32 s3, s25, 0x7fffffff
	s_cmp_lg_u32 s3, 0
	v_cmp_neq_f32_e64 s[12:13], s24, 1.0
	s_cselect_b64 s[30:31], -1, 0
	s_or_b64 s[12:13], s[12:13], s[30:31]
.LBB4_10:
	s_andn2_b64 vcc, exec, s[12:13]
	s_cbranch_vccnz .LBB4_22
; %bb.11:
	s_andn2_b64 vcc, exec, s[4:5]
	s_mov_b32 s29, 0
	s_cbranch_vccnz .LBB4_13
; %bb.12:
	s_mov_b64 s[12:13], 0
	s_branch .LBB4_14
.LBB4_13:
	s_mov_b64 s[12:13], -1
.LBB4_14:
	s_load_dword s20, s[0:1], 0x10
	s_mov_b64 s[4:5], 0
	s_andn2_b64 vcc, exec, s[12:13]
	s_mov_b64 s[30:31], 0
	s_cbranch_vccnz .LBB4_16
; %bb.15:
	s_lshl_b64 s[12:13], s[28:29], 3
	s_add_u32 s12, s14, s12
	s_addc_u32 s13, s15, s13
	s_load_dwordx2 s[12:13], s[12:13], 0x0
	s_lshl_b64 s[14:15], s[16:17], 3
	s_waitcnt lgkmcnt(0)
	s_add_u32 s30, s12, s14
	s_addc_u32 s31, s13, s15
.LBB4_16:
	s_load_dwordx4 s[12:15], s[0:1], 0x40
	s_load_dwordx2 s[16:17], s[0:1], 0x50
	s_andn2_b64 vcc, exec, s[34:35]
	s_cbranch_vccnz .LBB4_18
; %bb.17:
	s_lshl_b64 s[0:1], s[28:29], 3
	s_waitcnt lgkmcnt(0)
	s_add_u32 s0, s12, s0
	s_addc_u32 s1, s13, s1
	s_load_dwordx2 s[0:1], s[0:1], 0x0
	s_lshl_b64 s[4:5], s[14:15], 3
	s_waitcnt lgkmcnt(0)
	s_add_u32 s4, s0, s4
	s_addc_u32 s5, s1, s5
.LBB4_18:
	v_bfe_u32 v1, v0, 10, 10
	v_lshl_add_u32 v6, s2, 5, v1
	v_cmp_gt_i32_e32 vcc, s21, v6
	s_and_saveexec_b64 s[0:1], vcc
	s_cbranch_execz .LBB4_22
; %bb.19:
	s_lshl_b64 s[0:1], s[28:29], 3
	s_add_u32 s0, s6, s0
	s_addc_u32 s1, s7, s1
	v_cmp_neq_f32_e64 s[2:3], s26, 0
	v_cmp_neq_f32_e64 s[6:7], s27, 0
	s_or_b64 s[2:3], s[2:3], s[6:7]
	s_and_b64 vcc, exec, s[2:3]
	s_cbranch_vccnz .LBB4_23
; %bb.20:
	v_and_b32_e32 v7, 0x3ff, v0
	s_load_dwordx2 s[0:1], s[0:1], 0x0
	s_cbranch_execz .LBB4_24
; %bb.21:
	v_mov_b32_e32 v0, 0
	v_mov_b32_e32 v1, v0
	v_cmp_eq_u32_e32 vcc, 0, v7
	s_and_b64 exec, exec, vcc
	s_cbranch_execnz .LBB4_31
.LBB4_22:
	s_endpgm
.LBB4_23:
                                        ; implicit-def: $vgpr7
	s_load_dwordx2 s[0:1], s[0:1], 0x0
.LBB4_24:
	v_and_b32_e32 v7, 0x3ff, v0
	v_min_i32_e32 v4, s23, v6
	s_waitcnt lgkmcnt(0)
	v_sub_u32_e32 v0, s20, v7
	v_add_u32_e32 v0, v0, v4
	v_cmp_lt_i32_e32 vcc, -1, v0
	v_mov_b32_e32 v1, 0
	v_mov_b32_e32 v9, 0
	s_and_saveexec_b64 s[2:3], vcc
	s_cbranch_execz .LBB4_30
; %bb.25:
	v_subrev_u32_e32 v1, s23, v6
	v_max_i32_e32 v1, 0, v1
	v_add_u32_e32 v8, v1, v7
	v_ashrrev_i32_e32 v5, 31, v8
	v_mul_lo_u32 v1, s18, v5
	v_mul_lo_u32 v9, s19, v8
	v_mad_u64_u32 v[2:3], s[6:7], s18, v8, 0
	v_add3_u32 v3, v3, v1, v9
	v_mov_b32_e32 v1, 0
	v_lshlrev_b64 v[10:11], 3, v[0:1]
	v_lshl_add_u64 v[2:3], v[2:3], 3, v[10:11]
	s_lshl_b64 s[6:7], s[18:19], 8
	v_add_u32_e32 v0, s20, v4
	v_mul_lo_u32 v9, s16, v5
	v_mul_lo_u32 v10, s17, v8
	v_mad_u64_u32 v[4:5], s[12:13], s16, v8, 0
	s_add_u32 s6, s6, 0xffffff00
	v_sub_u32_e32 v0, v0, v7
	v_add3_u32 v5, v5, v9, v10
	v_lshl_add_u64 v[2:3], s[30:31], 0, v[2:3]
	s_addc_u32 s7, s7, -1
	v_add_u32_e32 v0, 32, v0
	v_lshl_add_u64 v[4:5], v[4:5], 3, s[4:5]
	s_lshl_b64 s[12:13], s[16:17], 8
	s_mov_b64 s[4:5], 0
	v_mov_b32_e32 v9, v1
	s_branch .LBB4_27
.LBB4_26:                               ;   in Loop: Header=BB4_27 Depth=1
	s_or_b64 exec, exec, s[14:15]
	v_subrev_u32_e32 v0, 32, v0
	v_cmp_gt_u32_e32 vcc, 32, v0
	v_add_u32_e32 v8, 32, v8
	v_lshl_add_u64 v[2:3], v[2:3], 0, s[6:7]
	s_or_b64 s[4:5], vcc, s[4:5]
	v_lshl_add_u64 v[4:5], v[4:5], 0, s[12:13]
	s_andn2_b64 exec, exec, s[4:5]
	s_cbranch_execz .LBB4_29
.LBB4_27:                               ; =>This Inner Loop Header: Depth=1
	v_cmp_gt_i32_e32 vcc, s22, v8
	s_and_saveexec_b64 s[14:15], vcc
	s_cbranch_execz .LBB4_26
; %bb.28:                               ;   in Loop: Header=BB4_27 Depth=1
	flat_load_dwordx2 v[10:11], v[2:3]
	flat_load_dwordx2 v[12:13], v[4:5]
	s_waitcnt vmcnt(0) lgkmcnt(0)
	v_mul_f32_e32 v14, v13, v11
	v_mul_f32_e32 v11, v12, v11
	v_fma_f32 v12, v12, v10, -v14
	v_fmac_f32_e32 v11, v13, v10
	v_add_f32_e32 v9, v9, v12
	v_add_f32_e32 v1, v1, v11
	s_branch .LBB4_26
.LBB4_29:
	s_or_b64 exec, exec, s[4:5]
.LBB4_30:
	s_or_b64 exec, exec, s[2:3]
	v_mbcnt_lo_u32_b32 v0, -1, 0
	v_mbcnt_hi_u32_b32 v0, -1, v0
	v_and_b32_e32 v2, 63, v0
	v_cmp_gt_u32_e32 vcc, 48, v2
	s_barrier
	s_nop 0
	v_cndmask_b32_e64 v3, 0, 16, vcc
	v_add_lshl_u32 v3, v3, v0, 2
	ds_bpermute_b32 v4, v3, v9
	ds_bpermute_b32 v3, v3, v1
	v_cmp_gt_u32_e32 vcc, 56, v2
	s_waitcnt lgkmcnt(0)
	v_add_f32_e32 v4, v9, v4
	v_add_f32_e32 v1, v1, v3
	v_cndmask_b32_e64 v3, 0, 8, vcc
	v_add_lshl_u32 v3, v3, v0, 2
	ds_bpermute_b32 v5, v3, v4
	ds_bpermute_b32 v3, v3, v1
	v_cmp_gt_u32_e32 vcc, 60, v2
	s_waitcnt lgkmcnt(1)
	v_add_f32_e32 v4, v4, v5
	s_waitcnt lgkmcnt(0)
	v_add_f32_e32 v1, v1, v3
	v_cndmask_b32_e64 v3, 0, 4, vcc
	v_add_lshl_u32 v3, v3, v0, 2
	ds_bpermute_b32 v5, v3, v4
	ds_bpermute_b32 v3, v3, v1
	v_cmp_gt_u32_e32 vcc, 62, v2
	s_waitcnt lgkmcnt(1)
	v_add_f32_e32 v4, v4, v5
	s_waitcnt lgkmcnt(0)
	v_add_f32_e32 v1, v1, v3
	v_cndmask_b32_e64 v3, 0, 2, vcc
	v_add_lshl_u32 v3, v3, v0, 2
	ds_bpermute_b32 v5, v3, v4
	ds_bpermute_b32 v3, v3, v1
	v_cmp_ne_u32_e32 vcc, 63, v2
	s_waitcnt lgkmcnt(1)
	v_add_f32_e32 v4, v4, v5
	v_addc_co_u32_e32 v0, vcc, 0, v0, vcc
	s_waitcnt lgkmcnt(0)
	v_add_f32_e32 v1, v1, v3
	v_lshlrev_b32_e32 v0, 2, v0
	ds_bpermute_b32 v2, v0, v4
	ds_bpermute_b32 v0, v0, v1
	s_waitcnt lgkmcnt(1)
	v_add_f32_e32 v2, v4, v2
	s_waitcnt lgkmcnt(0)
	v_add_f32_e32 v0, v1, v0
	v_pk_mul_f32 v[4:5], v[0:1], s[26:27] op_sel:[0,1] op_sel_hi:[0,0]
	v_pk_fma_f32 v[0:1], v[2:3], s[26:27], v[4:5] neg_lo:[0,0,1] neg_hi:[0,0,1]
	v_pk_fma_f32 v[2:3], v[2:3], s[26:27], v[4:5] op_sel_hi:[0,1,1]
	v_mov_b32_e32 v1, v3
	v_cmp_eq_u32_e32 vcc, 0, v7
	s_and_b64 exec, exec, vcc
	s_cbranch_execz .LBB4_22
.LBB4_31:
	s_lshl_b64 s[2:3], s[8:9], 3
	s_waitcnt lgkmcnt(0)
	s_add_u32 s0, s0, s2
	s_addc_u32 s1, s1, s3
	s_or_b32 s2, s24, s25
	v_ashrrev_i32_e32 v2, 31, v6
	s_and_b32 s4, s2, 0x7fffffff
	v_mul_lo_u32 v4, s11, v6
	v_mul_lo_u32 v5, s10, v2
	v_mad_u64_u32 v[2:3], s[2:3], s10, v6, 0
	v_add3_u32 v3, v3, v5, v4
	s_cmp_eq_u32 s4, 0
	v_lshl_add_u64 v[2:3], v[2:3], 3, s[0:1]
	s_cbranch_scc1 .LBB4_33
; %bb.32:
	flat_load_dwordx2 v[4:5], v[2:3]
	s_waitcnt vmcnt(0) lgkmcnt(0)
	v_pk_mul_f32 v[6:7], v[4:5], s[24:25] op_sel:[1,1] op_sel_hi:[0,1]
	v_pk_fma_f32 v[8:9], v[4:5], s[24:25], v[6:7] neg_lo:[0,0,1] neg_hi:[0,0,1]
	v_pk_fma_f32 v[4:5], v[4:5], s[24:25], v[6:7] op_sel_hi:[1,0,1]
	s_nop 0
	v_mov_b32_e32 v9, v5
	v_pk_add_f32 v[0:1], v[0:1], v[8:9]
.LBB4_33:
	flat_store_dwordx2 v[2:3], v[0:1]
	s_endpgm
	.section	.rodata,"a",@progbits
	.p2align	6, 0x0
	.amdhsa_kernel _ZL20rocblas_gbmvn_kernelILi32ELi32E24rocblas_internal_val_ptrI19rocblas_complex_numIfEEPKPKS2_PKPS2_EvbiiiiT1_T2_lllSC_lllSB_T3_llli
		.amdhsa_group_segment_fixed_size 0
		.amdhsa_private_segment_fixed_size 0
		.amdhsa_kernarg_size 140
		.amdhsa_user_sgpr_count 2
		.amdhsa_user_sgpr_dispatch_ptr 0
		.amdhsa_user_sgpr_queue_ptr 0
		.amdhsa_user_sgpr_kernarg_segment_ptr 1
		.amdhsa_user_sgpr_dispatch_id 0
		.amdhsa_user_sgpr_kernarg_preload_length 0
		.amdhsa_user_sgpr_kernarg_preload_offset 0
		.amdhsa_user_sgpr_private_segment_size 0
		.amdhsa_uses_dynamic_stack 0
		.amdhsa_enable_private_segment 0
		.amdhsa_system_sgpr_workgroup_id_x 1
		.amdhsa_system_sgpr_workgroup_id_y 0
		.amdhsa_system_sgpr_workgroup_id_z 1
		.amdhsa_system_sgpr_workgroup_info 0
		.amdhsa_system_vgpr_workitem_id 1
		.amdhsa_next_free_vgpr 15
		.amdhsa_next_free_sgpr 36
		.amdhsa_accum_offset 16
		.amdhsa_reserve_vcc 1
		.amdhsa_float_round_mode_32 0
		.amdhsa_float_round_mode_16_64 0
		.amdhsa_float_denorm_mode_32 3
		.amdhsa_float_denorm_mode_16_64 3
		.amdhsa_dx10_clamp 1
		.amdhsa_ieee_mode 1
		.amdhsa_fp16_overflow 0
		.amdhsa_tg_split 0
		.amdhsa_exception_fp_ieee_invalid_op 0
		.amdhsa_exception_fp_denorm_src 0
		.amdhsa_exception_fp_ieee_div_zero 0
		.amdhsa_exception_fp_ieee_overflow 0
		.amdhsa_exception_fp_ieee_underflow 0
		.amdhsa_exception_fp_ieee_inexact 0
		.amdhsa_exception_int_div_zero 0
	.end_amdhsa_kernel
	.section	.text._ZL20rocblas_gbmvn_kernelILi32ELi32E24rocblas_internal_val_ptrI19rocblas_complex_numIfEEPKPKS2_PKPS2_EvbiiiiT1_T2_lllSC_lllSB_T3_llli,"axG",@progbits,_ZL20rocblas_gbmvn_kernelILi32ELi32E24rocblas_internal_val_ptrI19rocblas_complex_numIfEEPKPKS2_PKPS2_EvbiiiiT1_T2_lllSC_lllSB_T3_llli,comdat
.Lfunc_end4:
	.size	_ZL20rocblas_gbmvn_kernelILi32ELi32E24rocblas_internal_val_ptrI19rocblas_complex_numIfEEPKPKS2_PKPS2_EvbiiiiT1_T2_lllSC_lllSB_T3_llli, .Lfunc_end4-_ZL20rocblas_gbmvn_kernelILi32ELi32E24rocblas_internal_val_ptrI19rocblas_complex_numIfEEPKPKS2_PKPS2_EvbiiiiT1_T2_lllSC_lllSB_T3_llli
                                        ; -- End function
	.set _ZL20rocblas_gbmvn_kernelILi32ELi32E24rocblas_internal_val_ptrI19rocblas_complex_numIfEEPKPKS2_PKPS2_EvbiiiiT1_T2_lllSC_lllSB_T3_llli.num_vgpr, 15
	.set _ZL20rocblas_gbmvn_kernelILi32ELi32E24rocblas_internal_val_ptrI19rocblas_complex_numIfEEPKPKS2_PKPS2_EvbiiiiT1_T2_lllSC_lllSB_T3_llli.num_agpr, 0
	.set _ZL20rocblas_gbmvn_kernelILi32ELi32E24rocblas_internal_val_ptrI19rocblas_complex_numIfEEPKPKS2_PKPS2_EvbiiiiT1_T2_lllSC_lllSB_T3_llli.numbered_sgpr, 36
	.set _ZL20rocblas_gbmvn_kernelILi32ELi32E24rocblas_internal_val_ptrI19rocblas_complex_numIfEEPKPKS2_PKPS2_EvbiiiiT1_T2_lllSC_lllSB_T3_llli.num_named_barrier, 0
	.set _ZL20rocblas_gbmvn_kernelILi32ELi32E24rocblas_internal_val_ptrI19rocblas_complex_numIfEEPKPKS2_PKPS2_EvbiiiiT1_T2_lllSC_lllSB_T3_llli.private_seg_size, 0
	.set _ZL20rocblas_gbmvn_kernelILi32ELi32E24rocblas_internal_val_ptrI19rocblas_complex_numIfEEPKPKS2_PKPS2_EvbiiiiT1_T2_lllSC_lllSB_T3_llli.uses_vcc, 1
	.set _ZL20rocblas_gbmvn_kernelILi32ELi32E24rocblas_internal_val_ptrI19rocblas_complex_numIfEEPKPKS2_PKPS2_EvbiiiiT1_T2_lllSC_lllSB_T3_llli.uses_flat_scratch, 0
	.set _ZL20rocblas_gbmvn_kernelILi32ELi32E24rocblas_internal_val_ptrI19rocblas_complex_numIfEEPKPKS2_PKPS2_EvbiiiiT1_T2_lllSC_lllSB_T3_llli.has_dyn_sized_stack, 0
	.set _ZL20rocblas_gbmvn_kernelILi32ELi32E24rocblas_internal_val_ptrI19rocblas_complex_numIfEEPKPKS2_PKPS2_EvbiiiiT1_T2_lllSC_lllSB_T3_llli.has_recursion, 0
	.set _ZL20rocblas_gbmvn_kernelILi32ELi32E24rocblas_internal_val_ptrI19rocblas_complex_numIfEEPKPKS2_PKPS2_EvbiiiiT1_T2_lllSC_lllSB_T3_llli.has_indirect_call, 0
	.section	.AMDGPU.csdata,"",@progbits
; Kernel info:
; codeLenInByte = 1260
; TotalNumSgprs: 42
; NumVgprs: 15
; NumAgprs: 0
; TotalNumVgprs: 15
; ScratchSize: 0
; MemoryBound: 0
; FloatMode: 240
; IeeeMode: 1
; LDSByteSize: 0 bytes/workgroup (compile time only)
; SGPRBlocks: 5
; VGPRBlocks: 1
; NumSGPRsForWavesPerEU: 42
; NumVGPRsForWavesPerEU: 15
; AccumOffset: 16
; Occupancy: 8
; WaveLimiterHint : 1
; COMPUTE_PGM_RSRC2:SCRATCH_EN: 0
; COMPUTE_PGM_RSRC2:USER_SGPR: 2
; COMPUTE_PGM_RSRC2:TRAP_HANDLER: 0
; COMPUTE_PGM_RSRC2:TGID_X_EN: 1
; COMPUTE_PGM_RSRC2:TGID_Y_EN: 0
; COMPUTE_PGM_RSRC2:TGID_Z_EN: 1
; COMPUTE_PGM_RSRC2:TIDIG_COMP_CNT: 1
; COMPUTE_PGM_RSRC3_GFX90A:ACCUM_OFFSET: 3
; COMPUTE_PGM_RSRC3_GFX90A:TG_SPLIT: 0
	.section	.text._ZL20rocblas_gbmvn_kernelILi64ELi16E24rocblas_internal_val_ptrI19rocblas_complex_numIfEEPKPKS2_PKPS2_EvbiiiiT1_T2_lllSC_lllSB_T3_llli,"axG",@progbits,_ZL20rocblas_gbmvn_kernelILi64ELi16E24rocblas_internal_val_ptrI19rocblas_complex_numIfEEPKPKS2_PKPS2_EvbiiiiT1_T2_lllSC_lllSB_T3_llli,comdat
	.globl	_ZL20rocblas_gbmvn_kernelILi64ELi16E24rocblas_internal_val_ptrI19rocblas_complex_numIfEEPKPKS2_PKPS2_EvbiiiiT1_T2_lllSC_lllSB_T3_llli ; -- Begin function _ZL20rocblas_gbmvn_kernelILi64ELi16E24rocblas_internal_val_ptrI19rocblas_complex_numIfEEPKPKS2_PKPS2_EvbiiiiT1_T2_lllSC_lllSB_T3_llli
	.p2align	8
	.type	_ZL20rocblas_gbmvn_kernelILi64ELi16E24rocblas_internal_val_ptrI19rocblas_complex_numIfEEPKPKS2_PKPS2_EvbiiiiT1_T2_lllSC_lllSB_T3_llli,@function
_ZL20rocblas_gbmvn_kernelILi64ELi16E24rocblas_internal_val_ptrI19rocblas_complex_numIfEEPKPKS2_PKPS2_EvbiiiiT1_T2_lllSC_lllSB_T3_llli: ; @_ZL20rocblas_gbmvn_kernelILi64ELi16E24rocblas_internal_val_ptrI19rocblas_complex_numIfEEPKPKS2_PKPS2_EvbiiiiT1_T2_lllSC_lllSB_T3_llli
; %bb.0:
	s_load_dwordx4 s[20:23], s[0:1], 0x0
	s_load_dwordx8 s[12:19], s[0:1], 0x18
	s_mov_b32 s28, s3
	s_mov_b64 s[30:31], -1
                                        ; implicit-def: $sgpr26_sgpr27
	s_waitcnt lgkmcnt(0)
	s_bitcmp1_b32 s20, 0
	s_cselect_b64 s[4:5], -1, 0
	s_xor_b64 s[24:25], s[4:5], -1
	s_and_b64 vcc, exec, s[24:25]
	s_cbranch_vccnz .LBB5_4
; %bb.1:
	s_load_dwordx8 s[4:11], s[0:1], 0x60
	s_andn2_b64 vcc, exec, s[30:31]
	s_cbranch_vccz .LBB5_5
.LBB5_2:
	s_and_b64 vcc, exec, s[24:25]
	s_cbranch_vccz .LBB5_6
.LBB5_3:
	s_waitcnt lgkmcnt(0)
	s_load_dwordx2 s[24:25], s[4:5], 0x0
	s_cbranch_execz .LBB5_7
	s_branch .LBB5_8
.LBB5_4:
	s_load_dwordx2 s[26:27], s[12:13], 0x0
	s_load_dwordx8 s[4:11], s[0:1], 0x60
	s_cbranch_execnz .LBB5_2
.LBB5_5:
	s_waitcnt lgkmcnt(0)
	s_mov_b64 s[26:27], s[12:13]
	s_and_b64 vcc, exec, s[24:25]
	s_cbranch_vccnz .LBB5_3
.LBB5_6:
                                        ; implicit-def: $sgpr24_sgpr25
.LBB5_7:
	s_waitcnt lgkmcnt(0)
	s_mov_b64 s[24:25], s[4:5]
.LBB5_8:
	s_waitcnt lgkmcnt(0)
	s_or_b32 s3, s26, s27
	s_bitset0_b32 s3, 31
	s_cmp_lg_u32 s3, 0
	s_cselect_b64 s[34:35], -1, 0
	s_cmp_eq_u32 s3, 0
	s_cselect_b64 s[4:5], -1, 0
	s_mov_b64 s[12:13], -1
	s_and_b64 vcc, exec, s[34:35]
	s_cbranch_vccnz .LBB5_10
; %bb.9:
	s_and_b32 s3, s25, 0x7fffffff
	s_cmp_lg_u32 s3, 0
	v_cmp_neq_f32_e64 s[12:13], s24, 1.0
	s_cselect_b64 s[30:31], -1, 0
	s_or_b64 s[12:13], s[12:13], s[30:31]
.LBB5_10:
	s_andn2_b64 vcc, exec, s[12:13]
	s_cbranch_vccnz .LBB5_22
; %bb.11:
	s_andn2_b64 vcc, exec, s[4:5]
	s_mov_b32 s29, 0
	s_cbranch_vccnz .LBB5_13
; %bb.12:
	s_mov_b64 s[12:13], 0
	s_branch .LBB5_14
.LBB5_13:
	s_mov_b64 s[12:13], -1
.LBB5_14:
	s_load_dword s20, s[0:1], 0x10
	s_mov_b64 s[4:5], 0
	s_andn2_b64 vcc, exec, s[12:13]
	s_mov_b64 s[30:31], 0
	s_cbranch_vccnz .LBB5_16
; %bb.15:
	s_lshl_b64 s[12:13], s[28:29], 3
	s_add_u32 s12, s14, s12
	s_addc_u32 s13, s15, s13
	s_load_dwordx2 s[12:13], s[12:13], 0x0
	s_lshl_b64 s[14:15], s[16:17], 3
	s_waitcnt lgkmcnt(0)
	s_add_u32 s30, s12, s14
	s_addc_u32 s31, s13, s15
.LBB5_16:
	s_load_dwordx4 s[12:15], s[0:1], 0x40
	s_load_dwordx2 s[16:17], s[0:1], 0x50
	s_andn2_b64 vcc, exec, s[34:35]
	s_cbranch_vccnz .LBB5_18
; %bb.17:
	s_lshl_b64 s[0:1], s[28:29], 3
	s_waitcnt lgkmcnt(0)
	s_add_u32 s0, s12, s0
	s_addc_u32 s1, s13, s1
	s_load_dwordx2 s[0:1], s[0:1], 0x0
	s_lshl_b64 s[4:5], s[14:15], 3
	s_waitcnt lgkmcnt(0)
	s_add_u32 s4, s0, s4
	s_addc_u32 s5, s1, s5
.LBB5_18:
	v_bfe_u32 v1, v0, 10, 10
	v_lshl_add_u32 v6, s2, 4, v1
	v_cmp_gt_i32_e32 vcc, s21, v6
	s_and_saveexec_b64 s[0:1], vcc
	s_cbranch_execz .LBB5_22
; %bb.19:
	s_lshl_b64 s[0:1], s[28:29], 3
	s_add_u32 s0, s6, s0
	s_addc_u32 s1, s7, s1
	v_cmp_neq_f32_e64 s[2:3], s26, 0
	v_cmp_neq_f32_e64 s[6:7], s27, 0
	s_or_b64 s[2:3], s[2:3], s[6:7]
	s_and_b64 vcc, exec, s[2:3]
	s_cbranch_vccnz .LBB5_23
; %bb.20:
	v_and_b32_e32 v7, 0x3ff, v0
	s_load_dwordx2 s[0:1], s[0:1], 0x0
	s_cbranch_execz .LBB5_24
; %bb.21:
	v_mov_b32_e32 v0, 0
	v_mov_b32_e32 v1, v0
	v_cmp_eq_u32_e32 vcc, 0, v7
	s_and_b64 exec, exec, vcc
	s_cbranch_execnz .LBB5_31
.LBB5_22:
	s_endpgm
.LBB5_23:
                                        ; implicit-def: $vgpr7
	s_load_dwordx2 s[0:1], s[0:1], 0x0
.LBB5_24:
	v_and_b32_e32 v7, 0x3ff, v0
	v_min_i32_e32 v4, s23, v6
	s_waitcnt lgkmcnt(0)
	v_sub_u32_e32 v0, s20, v7
	v_add_u32_e32 v0, v0, v4
	v_cmp_lt_i32_e32 vcc, -1, v0
	v_mov_b32_e32 v1, 0
	v_mov_b32_e32 v9, 0
	s_and_saveexec_b64 s[2:3], vcc
	s_cbranch_execz .LBB5_30
; %bb.25:
	v_subrev_u32_e32 v1, s23, v6
	v_max_i32_e32 v1, 0, v1
	v_add_u32_e32 v8, v1, v7
	v_ashrrev_i32_e32 v5, 31, v8
	v_mul_lo_u32 v1, s18, v5
	v_mul_lo_u32 v9, s19, v8
	v_mad_u64_u32 v[2:3], s[6:7], s18, v8, 0
	v_add3_u32 v3, v3, v1, v9
	v_mov_b32_e32 v1, 0
	v_lshlrev_b64 v[10:11], 3, v[0:1]
	v_lshl_add_u64 v[2:3], v[2:3], 3, v[10:11]
	s_lshl_b64 s[6:7], s[18:19], 9
	v_add_u32_e32 v0, s20, v4
	v_mul_lo_u32 v9, s16, v5
	v_mul_lo_u32 v10, s17, v8
	v_mad_u64_u32 v[4:5], s[12:13], s16, v8, 0
	s_add_u32 s6, s6, 0xfffffe00
	v_sub_u32_e32 v0, v0, v7
	v_add3_u32 v5, v5, v9, v10
	v_lshl_add_u64 v[2:3], s[30:31], 0, v[2:3]
	s_addc_u32 s7, s7, -1
	v_add_u32_e32 v0, 64, v0
	v_lshl_add_u64 v[4:5], v[4:5], 3, s[4:5]
	s_lshl_b64 s[12:13], s[16:17], 9
	s_mov_b64 s[4:5], 0
	v_mov_b32_e32 v9, v1
	s_branch .LBB5_27
.LBB5_26:                               ;   in Loop: Header=BB5_27 Depth=1
	s_or_b64 exec, exec, s[14:15]
	v_subrev_u32_e32 v0, 64, v0
	v_cmp_gt_u32_e32 vcc, 64, v0
	v_add_u32_e32 v8, 64, v8
	v_lshl_add_u64 v[2:3], v[2:3], 0, s[6:7]
	s_or_b64 s[4:5], vcc, s[4:5]
	v_lshl_add_u64 v[4:5], v[4:5], 0, s[12:13]
	s_andn2_b64 exec, exec, s[4:5]
	s_cbranch_execz .LBB5_29
.LBB5_27:                               ; =>This Inner Loop Header: Depth=1
	v_cmp_gt_i32_e32 vcc, s22, v8
	s_and_saveexec_b64 s[14:15], vcc
	s_cbranch_execz .LBB5_26
; %bb.28:                               ;   in Loop: Header=BB5_27 Depth=1
	flat_load_dwordx2 v[10:11], v[2:3]
	flat_load_dwordx2 v[12:13], v[4:5]
	s_waitcnt vmcnt(0) lgkmcnt(0)
	v_mul_f32_e32 v14, v13, v11
	v_mul_f32_e32 v11, v12, v11
	v_fma_f32 v12, v12, v10, -v14
	v_fmac_f32_e32 v11, v13, v10
	v_add_f32_e32 v9, v9, v12
	v_add_f32_e32 v1, v1, v11
	s_branch .LBB5_26
.LBB5_29:
	s_or_b64 exec, exec, s[4:5]
.LBB5_30:
	s_or_b64 exec, exec, s[2:3]
	v_mbcnt_lo_u32_b32 v0, -1, 0
	v_mbcnt_hi_u32_b32 v0, -1, v0
	v_mov_b32_e32 v2, 0x80
	v_lshl_or_b32 v2, v0, 2, v2
	ds_bpermute_b32 v3, v2, v9
	ds_bpermute_b32 v2, v2, v1
	v_and_b32_e32 v4, 63, v0
	v_cmp_gt_u32_e32 vcc, 48, v4
	s_waitcnt lgkmcnt(0)
	v_add_f32_e32 v3, v9, v3
	v_add_f32_e32 v1, v1, v2
	v_cndmask_b32_e64 v2, 0, 16, vcc
	v_add_lshl_u32 v2, v2, v0, 2
	ds_bpermute_b32 v5, v2, v3
	ds_bpermute_b32 v2, v2, v1
	v_cmp_gt_u32_e32 vcc, 56, v4
	s_barrier
	s_waitcnt lgkmcnt(0)
	v_add_f32_e32 v3, v3, v5
	v_add_f32_e32 v1, v1, v2
	v_cndmask_b32_e64 v2, 0, 8, vcc
	v_add_lshl_u32 v2, v2, v0, 2
	ds_bpermute_b32 v5, v2, v3
	ds_bpermute_b32 v2, v2, v1
	v_cmp_gt_u32_e32 vcc, 60, v4
	s_waitcnt lgkmcnt(1)
	v_add_f32_e32 v3, v3, v5
	s_waitcnt lgkmcnt(0)
	v_add_f32_e32 v1, v1, v2
	v_cndmask_b32_e64 v2, 0, 4, vcc
	v_add_lshl_u32 v2, v2, v0, 2
	ds_bpermute_b32 v5, v2, v3
	ds_bpermute_b32 v2, v2, v1
	v_cmp_gt_u32_e32 vcc, 62, v4
	s_waitcnt lgkmcnt(1)
	v_add_f32_e32 v3, v3, v5
	s_waitcnt lgkmcnt(0)
	v_add_f32_e32 v1, v1, v2
	v_cndmask_b32_e64 v2, 0, 2, vcc
	v_add_lshl_u32 v2, v2, v0, 2
	ds_bpermute_b32 v5, v2, v3
	ds_bpermute_b32 v2, v2, v1
	v_cmp_ne_u32_e32 vcc, 63, v4
	s_waitcnt lgkmcnt(1)
	v_add_f32_e32 v3, v3, v5
	v_addc_co_u32_e32 v0, vcc, 0, v0, vcc
	s_waitcnt lgkmcnt(0)
	v_add_f32_e32 v1, v1, v2
	v_lshlrev_b32_e32 v0, 2, v0
	ds_bpermute_b32 v2, v0, v3
	ds_bpermute_b32 v0, v0, v1
	s_waitcnt lgkmcnt(1)
	v_add_f32_e32 v2, v3, v2
	s_waitcnt lgkmcnt(0)
	v_add_f32_e32 v0, v1, v0
	v_pk_mul_f32 v[4:5], v[0:1], s[26:27] op_sel:[0,1] op_sel_hi:[0,0]
	v_pk_fma_f32 v[0:1], v[2:3], s[26:27], v[4:5] neg_lo:[0,0,1] neg_hi:[0,0,1]
	v_pk_fma_f32 v[2:3], v[2:3], s[26:27], v[4:5] op_sel_hi:[0,1,1]
	v_mov_b32_e32 v1, v3
	v_cmp_eq_u32_e32 vcc, 0, v7
	s_and_b64 exec, exec, vcc
	s_cbranch_execz .LBB5_22
.LBB5_31:
	s_lshl_b64 s[2:3], s[8:9], 3
	s_waitcnt lgkmcnt(0)
	s_add_u32 s0, s0, s2
	s_addc_u32 s1, s1, s3
	s_or_b32 s2, s24, s25
	v_ashrrev_i32_e32 v2, 31, v6
	s_and_b32 s4, s2, 0x7fffffff
	v_mul_lo_u32 v4, s11, v6
	v_mul_lo_u32 v5, s10, v2
	v_mad_u64_u32 v[2:3], s[2:3], s10, v6, 0
	v_add3_u32 v3, v3, v5, v4
	s_cmp_eq_u32 s4, 0
	v_lshl_add_u64 v[2:3], v[2:3], 3, s[0:1]
	s_cbranch_scc1 .LBB5_33
; %bb.32:
	flat_load_dwordx2 v[4:5], v[2:3]
	s_waitcnt vmcnt(0) lgkmcnt(0)
	v_pk_mul_f32 v[6:7], v[4:5], s[24:25] op_sel:[1,1] op_sel_hi:[0,1]
	v_pk_fma_f32 v[8:9], v[4:5], s[24:25], v[6:7] neg_lo:[0,0,1] neg_hi:[0,0,1]
	v_pk_fma_f32 v[4:5], v[4:5], s[24:25], v[6:7] op_sel_hi:[1,0,1]
	s_nop 0
	v_mov_b32_e32 v9, v5
	v_pk_add_f32 v[0:1], v[0:1], v[8:9]
.LBB5_33:
	flat_store_dwordx2 v[2:3], v[0:1]
	s_endpgm
	.section	.rodata,"a",@progbits
	.p2align	6, 0x0
	.amdhsa_kernel _ZL20rocblas_gbmvn_kernelILi64ELi16E24rocblas_internal_val_ptrI19rocblas_complex_numIfEEPKPKS2_PKPS2_EvbiiiiT1_T2_lllSC_lllSB_T3_llli
		.amdhsa_group_segment_fixed_size 0
		.amdhsa_private_segment_fixed_size 0
		.amdhsa_kernarg_size 140
		.amdhsa_user_sgpr_count 2
		.amdhsa_user_sgpr_dispatch_ptr 0
		.amdhsa_user_sgpr_queue_ptr 0
		.amdhsa_user_sgpr_kernarg_segment_ptr 1
		.amdhsa_user_sgpr_dispatch_id 0
		.amdhsa_user_sgpr_kernarg_preload_length 0
		.amdhsa_user_sgpr_kernarg_preload_offset 0
		.amdhsa_user_sgpr_private_segment_size 0
		.amdhsa_uses_dynamic_stack 0
		.amdhsa_enable_private_segment 0
		.amdhsa_system_sgpr_workgroup_id_x 1
		.amdhsa_system_sgpr_workgroup_id_y 0
		.amdhsa_system_sgpr_workgroup_id_z 1
		.amdhsa_system_sgpr_workgroup_info 0
		.amdhsa_system_vgpr_workitem_id 1
		.amdhsa_next_free_vgpr 15
		.amdhsa_next_free_sgpr 36
		.amdhsa_accum_offset 16
		.amdhsa_reserve_vcc 1
		.amdhsa_float_round_mode_32 0
		.amdhsa_float_round_mode_16_64 0
		.amdhsa_float_denorm_mode_32 3
		.amdhsa_float_denorm_mode_16_64 3
		.amdhsa_dx10_clamp 1
		.amdhsa_ieee_mode 1
		.amdhsa_fp16_overflow 0
		.amdhsa_tg_split 0
		.amdhsa_exception_fp_ieee_invalid_op 0
		.amdhsa_exception_fp_denorm_src 0
		.amdhsa_exception_fp_ieee_div_zero 0
		.amdhsa_exception_fp_ieee_overflow 0
		.amdhsa_exception_fp_ieee_underflow 0
		.amdhsa_exception_fp_ieee_inexact 0
		.amdhsa_exception_int_div_zero 0
	.end_amdhsa_kernel
	.section	.text._ZL20rocblas_gbmvn_kernelILi64ELi16E24rocblas_internal_val_ptrI19rocblas_complex_numIfEEPKPKS2_PKPS2_EvbiiiiT1_T2_lllSC_lllSB_T3_llli,"axG",@progbits,_ZL20rocblas_gbmvn_kernelILi64ELi16E24rocblas_internal_val_ptrI19rocblas_complex_numIfEEPKPKS2_PKPS2_EvbiiiiT1_T2_lllSC_lllSB_T3_llli,comdat
.Lfunc_end5:
	.size	_ZL20rocblas_gbmvn_kernelILi64ELi16E24rocblas_internal_val_ptrI19rocblas_complex_numIfEEPKPKS2_PKPS2_EvbiiiiT1_T2_lllSC_lllSB_T3_llli, .Lfunc_end5-_ZL20rocblas_gbmvn_kernelILi64ELi16E24rocblas_internal_val_ptrI19rocblas_complex_numIfEEPKPKS2_PKPS2_EvbiiiiT1_T2_lllSC_lllSB_T3_llli
                                        ; -- End function
	.set _ZL20rocblas_gbmvn_kernelILi64ELi16E24rocblas_internal_val_ptrI19rocblas_complex_numIfEEPKPKS2_PKPS2_EvbiiiiT1_T2_lllSC_lllSB_T3_llli.num_vgpr, 15
	.set _ZL20rocblas_gbmvn_kernelILi64ELi16E24rocblas_internal_val_ptrI19rocblas_complex_numIfEEPKPKS2_PKPS2_EvbiiiiT1_T2_lllSC_lllSB_T3_llli.num_agpr, 0
	.set _ZL20rocblas_gbmvn_kernelILi64ELi16E24rocblas_internal_val_ptrI19rocblas_complex_numIfEEPKPKS2_PKPS2_EvbiiiiT1_T2_lllSC_lllSB_T3_llli.numbered_sgpr, 36
	.set _ZL20rocblas_gbmvn_kernelILi64ELi16E24rocblas_internal_val_ptrI19rocblas_complex_numIfEEPKPKS2_PKPS2_EvbiiiiT1_T2_lllSC_lllSB_T3_llli.num_named_barrier, 0
	.set _ZL20rocblas_gbmvn_kernelILi64ELi16E24rocblas_internal_val_ptrI19rocblas_complex_numIfEEPKPKS2_PKPS2_EvbiiiiT1_T2_lllSC_lllSB_T3_llli.private_seg_size, 0
	.set _ZL20rocblas_gbmvn_kernelILi64ELi16E24rocblas_internal_val_ptrI19rocblas_complex_numIfEEPKPKS2_PKPS2_EvbiiiiT1_T2_lllSC_lllSB_T3_llli.uses_vcc, 1
	.set _ZL20rocblas_gbmvn_kernelILi64ELi16E24rocblas_internal_val_ptrI19rocblas_complex_numIfEEPKPKS2_PKPS2_EvbiiiiT1_T2_lllSC_lllSB_T3_llli.uses_flat_scratch, 0
	.set _ZL20rocblas_gbmvn_kernelILi64ELi16E24rocblas_internal_val_ptrI19rocblas_complex_numIfEEPKPKS2_PKPS2_EvbiiiiT1_T2_lllSC_lllSB_T3_llli.has_dyn_sized_stack, 0
	.set _ZL20rocblas_gbmvn_kernelILi64ELi16E24rocblas_internal_val_ptrI19rocblas_complex_numIfEEPKPKS2_PKPS2_EvbiiiiT1_T2_lllSC_lllSB_T3_llli.has_recursion, 0
	.set _ZL20rocblas_gbmvn_kernelILi64ELi16E24rocblas_internal_val_ptrI19rocblas_complex_numIfEEPKPKS2_PKPS2_EvbiiiiT1_T2_lllSC_lllSB_T3_llli.has_indirect_call, 0
	.section	.AMDGPU.csdata,"",@progbits
; Kernel info:
; codeLenInByte = 1300
; TotalNumSgprs: 42
; NumVgprs: 15
; NumAgprs: 0
; TotalNumVgprs: 15
; ScratchSize: 0
; MemoryBound: 0
; FloatMode: 240
; IeeeMode: 1
; LDSByteSize: 0 bytes/workgroup (compile time only)
; SGPRBlocks: 5
; VGPRBlocks: 1
; NumSGPRsForWavesPerEU: 42
; NumVGPRsForWavesPerEU: 15
; AccumOffset: 16
; Occupancy: 8
; WaveLimiterHint : 1
; COMPUTE_PGM_RSRC2:SCRATCH_EN: 0
; COMPUTE_PGM_RSRC2:USER_SGPR: 2
; COMPUTE_PGM_RSRC2:TRAP_HANDLER: 0
; COMPUTE_PGM_RSRC2:TGID_X_EN: 1
; COMPUTE_PGM_RSRC2:TGID_Y_EN: 0
; COMPUTE_PGM_RSRC2:TGID_Z_EN: 1
; COMPUTE_PGM_RSRC2:TIDIG_COMP_CNT: 1
; COMPUTE_PGM_RSRC3_GFX90A:ACCUM_OFFSET: 3
; COMPUTE_PGM_RSRC3_GFX90A:TG_SPLIT: 0
	.section	.text._ZL20rocblas_gbmvt_kernelILi32ELi32E24rocblas_internal_val_ptrI19rocblas_complex_numIfEEPKPKS2_PKPS2_Evb18rocblas_operation_iiiiT1_T2_lllSD_lllSC_T3_llli,"axG",@progbits,_ZL20rocblas_gbmvt_kernelILi32ELi32E24rocblas_internal_val_ptrI19rocblas_complex_numIfEEPKPKS2_PKPS2_Evb18rocblas_operation_iiiiT1_T2_lllSD_lllSC_T3_llli,comdat
	.globl	_ZL20rocblas_gbmvt_kernelILi32ELi32E24rocblas_internal_val_ptrI19rocblas_complex_numIfEEPKPKS2_PKPS2_Evb18rocblas_operation_iiiiT1_T2_lllSD_lllSC_T3_llli ; -- Begin function _ZL20rocblas_gbmvt_kernelILi32ELi32E24rocblas_internal_val_ptrI19rocblas_complex_numIfEEPKPKS2_PKPS2_Evb18rocblas_operation_iiiiT1_T2_lllSD_lllSC_T3_llli
	.p2align	8
	.type	_ZL20rocblas_gbmvt_kernelILi32ELi32E24rocblas_internal_val_ptrI19rocblas_complex_numIfEEPKPKS2_PKPS2_Evb18rocblas_operation_iiiiT1_T2_lllSD_lllSC_T3_llli,@function
_ZL20rocblas_gbmvt_kernelILi32ELi32E24rocblas_internal_val_ptrI19rocblas_complex_numIfEEPKPKS2_PKPS2_Evb18rocblas_operation_iiiiT1_T2_lllSD_lllSC_T3_llli: ; @_ZL20rocblas_gbmvt_kernelILi32ELi32E24rocblas_internal_val_ptrI19rocblas_complex_numIfEEPKPKS2_PKPS2_Evb18rocblas_operation_iiiiT1_T2_lllSD_lllSC_T3_llli
; %bb.0:
	s_load_dwordx4 s[20:23], s[0:1], 0x0
	s_load_dwordx8 s[12:19], s[0:1], 0x18
	s_mov_b32 s28, s3
	s_mov_b64 s[30:31], -1
                                        ; implicit-def: $sgpr26_sgpr27
	s_waitcnt lgkmcnt(0)
	s_bitcmp1_b32 s20, 0
	s_cselect_b64 s[4:5], -1, 0
	s_xor_b64 s[24:25], s[4:5], -1
	s_and_b64 vcc, exec, s[24:25]
	s_cbranch_vccnz .LBB6_4
; %bb.1:
	s_load_dwordx8 s[4:11], s[0:1], 0x60
	s_andn2_b64 vcc, exec, s[30:31]
	s_cbranch_vccz .LBB6_5
.LBB6_2:
	s_and_b64 vcc, exec, s[24:25]
	s_cbranch_vccz .LBB6_6
.LBB6_3:
	s_waitcnt lgkmcnt(0)
	s_load_dwordx2 s[24:25], s[4:5], 0x0
	s_cbranch_execz .LBB6_7
	s_branch .LBB6_8
.LBB6_4:
	s_load_dwordx2 s[26:27], s[12:13], 0x0
	s_load_dwordx8 s[4:11], s[0:1], 0x60
	s_cbranch_execnz .LBB6_2
.LBB6_5:
	s_waitcnt lgkmcnt(0)
	s_mov_b64 s[26:27], s[12:13]
	s_and_b64 vcc, exec, s[24:25]
	s_cbranch_vccnz .LBB6_3
.LBB6_6:
                                        ; implicit-def: $sgpr24_sgpr25
.LBB6_7:
	s_waitcnt lgkmcnt(0)
	s_mov_b64 s[24:25], s[4:5]
.LBB6_8:
	s_waitcnt lgkmcnt(0)
	s_or_b32 s3, s26, s27
	s_bitset0_b32 s3, 31
	s_cmp_lg_u32 s3, 0
	s_cselect_b64 s[36:37], -1, 0
	s_cmp_eq_u32 s3, 0
	s_cselect_b64 s[12:13], -1, 0
	s_mov_b64 s[4:5], -1
	s_and_b64 vcc, exec, s[36:37]
	s_cbranch_vccnz .LBB6_10
; %bb.9:
	s_and_b32 s3, s25, 0x7fffffff
	s_cmp_lg_u32 s3, 0
	v_cmp_neq_f32_e64 s[4:5], s24, 1.0
	s_cselect_b64 s[30:31], -1, 0
	s_or_b64 s[4:5], s[4:5], s[30:31]
.LBB6_10:
	s_andn2_b64 vcc, exec, s[4:5]
	s_cbranch_vccnz .LBB6_21
; %bb.11:
	s_load_dwordx2 s[4:5], s[0:1], 0x10
	s_andn2_b64 vcc, exec, s[12:13]
	s_mov_b32 s29, 0
	s_cbranch_vccnz .LBB6_13
; %bb.12:
	s_mov_b64 s[30:31], 0
	s_mov_b64 s[34:35], 0
	s_cbranch_execz .LBB6_14
	s_branch .LBB6_15
.LBB6_13:
	s_mov_b64 s[30:31], 0
	s_mov_b64 s[34:35], 0
.LBB6_14:
	s_lshl_b64 s[12:13], s[28:29], 3
	s_add_u32 s12, s14, s12
	s_addc_u32 s13, s15, s13
	s_load_dwordx2 s[12:13], s[12:13], 0x0
	s_lshl_b64 s[14:15], s[16:17], 3
	s_waitcnt lgkmcnt(0)
	s_add_u32 s34, s12, s14
	s_addc_u32 s35, s13, s15
.LBB6_15:
	s_load_dwordx4 s[12:15], s[0:1], 0x40
	s_load_dwordx2 s[16:17], s[0:1], 0x50
	s_andn2_b64 vcc, exec, s[36:37]
	s_cbranch_vccnz .LBB6_17
; %bb.16:
	s_lshl_b64 s[0:1], s[28:29], 3
	s_waitcnt lgkmcnt(0)
	s_add_u32 s0, s12, s0
	s_addc_u32 s1, s13, s1
	s_load_dwordx2 s[0:1], s[0:1], 0x0
	s_lshl_b64 s[12:13], s[14:15], 3
	s_waitcnt lgkmcnt(0)
	s_add_u32 s30, s0, s12
	s_addc_u32 s31, s1, s13
.LBB6_17:
	v_bfe_u32 v1, v0, 10, 10
	v_lshl_add_u32 v8, s2, 5, v1
	v_cmp_gt_i32_e32 vcc, s23, v8
	s_and_saveexec_b64 s[0:1], vcc
	s_cbranch_execz .LBB6_21
; %bb.18:
	s_lshl_b64 s[0:1], s[28:29], 3
	s_add_u32 s0, s6, s0
	s_addc_u32 s1, s7, s1
	v_cmp_neq_f32_e64 s[2:3], s26, 0
	v_cmp_neq_f32_e64 s[6:7], s27, 0
	s_or_b64 s[2:3], s[2:3], s[6:7]
	s_and_b64 vcc, exec, s[2:3]
	s_cbranch_vccnz .LBB6_22
; %bb.19:
	v_and_b32_e32 v9, 0x3ff, v0
	s_load_dwordx2 s[2:3], s[0:1], 0x0
	s_cbranch_execz .LBB6_23
; %bb.20:
	v_mov_b32_e32 v0, 0
	v_mov_b32_e32 v1, v0
	v_cmp_eq_u32_e32 vcc, 0, v9
	s_and_b64 exec, exec, vcc
	s_cbranch_execnz .LBB6_36
.LBB6_21:
	s_endpgm
.LBB6_22:
                                        ; implicit-def: $vgpr9
	s_load_dwordx2 s[2:3], s[0:1], 0x0
.LBB6_23:
	v_and_b32_e32 v9, 0x3ff, v0
	s_waitcnt lgkmcnt(0)
	s_add_i32 s4, s5, s4
	v_cmp_ge_i32_e32 vcc, s4, v9
	v_mov_b32_e32 v1, 0
	v_mov_b32_e32 v0, 0
	s_and_saveexec_b64 s[6:7], vcc
	s_cbranch_execz .LBB6_35
; %bb.24:
	v_ashrrev_i32_e32 v4, 31, v8
	v_mul_lo_u32 v0, s19, v8
	v_mul_lo_u32 v1, s18, v4
	v_mad_u64_u32 v[2:3], s[0:1], s18, v8, 0
	v_add3_u32 v3, v3, v1, v0
	v_lshlrev_b32_e32 v0, 3, v9
	v_mov_b32_e32 v1, 0
	v_sub_u32_e32 v10, s5, v9
	v_lshl_add_u64 v[2:3], v[2:3], 3, v[0:1]
	v_ashrrev_i32_e32 v0, 31, v10
	v_sub_co_u32_e32 v5, vcc, v8, v10
	v_mul_lo_u32 v6, s17, v5
	s_nop 0
	v_subb_co_u32_e32 v0, vcc, v4, v0, vcc
	v_mul_lo_u32 v0, s16, v0
	v_mad_u64_u32 v[4:5], s[0:1], s16, v5, 0
	s_cmpk_lg_i32 s21, 0x71
	v_add3_u32 v5, v5, v0, v6
	s_cselect_b64 s[12:13], -1, 0
	v_lshl_add_u64 v[2:3], s[34:35], 0, v[2:3]
	v_lshl_add_u64 v[4:5], v[4:5], 3, s[30:31]
	s_lshl_b64 s[16:17], s[16:17], 8
	s_mov_b64 s[14:15], 0
	s_mov_b64 s[18:19], 0x100
	v_mov_b32_e32 v11, v9
	v_mov_b32_e32 v0, v1
	s_branch .LBB6_28
.LBB6_25:                               ;   in Loop: Header=BB6_28 Depth=1
	flat_load_dwordx2 v[12:13], v[4:5]
	s_waitcnt vmcnt(0) lgkmcnt(0)
	v_mul_f32_e32 v14, v7, v13
	v_mul_f32_e32 v13, v13, v6
	v_fma_f32 v6, v12, v6, -v14
	v_fmac_f32_e32 v13, v7, v12
	v_add_f32_e32 v0, v0, v6
	v_add_f32_e32 v1, v1, v13
.LBB6_26:                               ;   in Loop: Header=BB6_28 Depth=1
	s_or_b64 exec, exec, s[0:1]
.LBB6_27:                               ;   in Loop: Header=BB6_28 Depth=1
	s_or_b64 exec, exec, s[20:21]
	v_add_u32_e32 v11, 32, v11
	v_cmp_lt_i32_e32 vcc, s4, v11
	v_lshl_add_u64 v[2:3], v[2:3], 0, s[18:19]
	v_lshl_add_u64 v[4:5], v[4:5], 0, s[16:17]
	s_or_b64 s[14:15], vcc, s[14:15]
	v_subrev_u32_e32 v10, 32, v10
	s_andn2_b64 exec, exec, s[14:15]
	s_cbranch_execz .LBB6_34
.LBB6_28:                               ; =>This Inner Loop Header: Depth=1
	v_add_u32_e32 v6, s22, v10
	v_cmp_lt_i32_e32 vcc, v8, v6
	s_and_saveexec_b64 s[20:21], vcc
	s_cbranch_execz .LBB6_27
; %bb.29:                               ;   in Loop: Header=BB6_28 Depth=1
	v_cmp_lt_i32_e32 vcc, s5, v11
	v_cmp_ge_i32_e64 s[0:1], v8, v10
	s_or_b64 s[28:29], vcc, s[0:1]
	s_and_saveexec_b64 s[0:1], s[28:29]
	s_cbranch_execz .LBB6_26
; %bb.30:                               ;   in Loop: Header=BB6_28 Depth=1
	s_mov_b64 s[28:29], -1
	s_and_b64 vcc, exec, s[12:13]
                                        ; implicit-def: $vgpr7
	s_cbranch_vccz .LBB6_32
; %bb.31:                               ;   in Loop: Header=BB6_28 Depth=1
	flat_load_dwordx2 v[6:7], v[2:3]
	s_mov_b64 s[28:29], 0
.LBB6_32:                               ;   in Loop: Header=BB6_28 Depth=1
	s_andn2_b64 vcc, exec, s[28:29]
	s_cbranch_vccnz .LBB6_25
; %bb.33:                               ;   in Loop: Header=BB6_28 Depth=1
	s_waitcnt vmcnt(0) lgkmcnt(0)
	flat_load_dwordx2 v[6:7], v[2:3]
	s_waitcnt vmcnt(0) lgkmcnt(0)
	v_xor_b32_e32 v7, 0x80000000, v7
	s_branch .LBB6_25
.LBB6_34:
	s_or_b64 exec, exec, s[14:15]
.LBB6_35:
	s_or_b64 exec, exec, s[6:7]
	v_mbcnt_lo_u32_b32 v2, -1, 0
	v_mbcnt_hi_u32_b32 v2, -1, v2
	v_and_b32_e32 v3, 63, v2
	v_cmp_gt_u32_e32 vcc, 48, v3
	s_barrier
	s_nop 0
	v_cndmask_b32_e64 v4, 0, 16, vcc
	v_add_lshl_u32 v4, v4, v2, 2
	ds_bpermute_b32 v5, v4, v0
	ds_bpermute_b32 v4, v4, v1
	v_cmp_gt_u32_e32 vcc, 56, v3
	s_waitcnt lgkmcnt(0)
	v_add_f32_e32 v0, v0, v5
	v_add_f32_e32 v1, v1, v4
	v_cndmask_b32_e64 v4, 0, 8, vcc
	v_add_lshl_u32 v4, v4, v2, 2
	ds_bpermute_b32 v5, v4, v0
	ds_bpermute_b32 v4, v4, v1
	v_cmp_gt_u32_e32 vcc, 60, v3
	s_waitcnt lgkmcnt(1)
	v_add_f32_e32 v0, v0, v5
	s_waitcnt lgkmcnt(0)
	v_add_f32_e32 v1, v1, v4
	v_cndmask_b32_e64 v4, 0, 4, vcc
	v_add_lshl_u32 v4, v4, v2, 2
	ds_bpermute_b32 v5, v4, v0
	ds_bpermute_b32 v4, v4, v1
	v_cmp_gt_u32_e32 vcc, 62, v3
	s_waitcnt lgkmcnt(1)
	v_add_f32_e32 v0, v0, v5
	s_waitcnt lgkmcnt(0)
	v_add_f32_e32 v1, v1, v4
	v_cndmask_b32_e64 v4, 0, 2, vcc
	v_add_lshl_u32 v4, v4, v2, 2
	ds_bpermute_b32 v5, v4, v0
	ds_bpermute_b32 v4, v4, v1
	v_cmp_ne_u32_e32 vcc, 63, v3
	s_waitcnt lgkmcnt(1)
	v_add_f32_e32 v0, v0, v5
	v_addc_co_u32_e32 v2, vcc, 0, v2, vcc
	s_waitcnt lgkmcnt(0)
	v_add_f32_e32 v1, v1, v4
	v_lshlrev_b32_e32 v2, 2, v2
	ds_bpermute_b32 v3, v2, v0
	ds_bpermute_b32 v4, v2, v1
	s_waitcnt lgkmcnt(1)
	v_add_f32_e32 v2, v0, v3
	s_waitcnt lgkmcnt(0)
	v_add_f32_e32 v0, v1, v4
	v_pk_mul_f32 v[4:5], v[0:1], s[26:27] op_sel:[0,1] op_sel_hi:[0,0]
	v_pk_fma_f32 v[0:1], v[2:3], s[26:27], v[4:5] neg_lo:[0,0,1] neg_hi:[0,0,1]
	v_pk_fma_f32 v[2:3], v[2:3], s[26:27], v[4:5] op_sel_hi:[0,1,1]
	v_mov_b32_e32 v1, v3
	v_cmp_eq_u32_e32 vcc, 0, v9
	s_and_b64 exec, exec, vcc
	s_cbranch_execz .LBB6_21
.LBB6_36:
	s_lshl_b64 s[0:1], s[8:9], 3
	s_waitcnt lgkmcnt(0)
	s_add_u32 s0, s2, s0
	s_addc_u32 s1, s3, s1
	s_or_b32 s2, s24, s25
	v_ashrrev_i32_e32 v2, 31, v8
	s_and_b32 s4, s2, 0x7fffffff
	v_mul_lo_u32 v4, s11, v8
	v_mul_lo_u32 v5, s10, v2
	v_mad_u64_u32 v[2:3], s[2:3], s10, v8, 0
	v_add3_u32 v3, v3, v5, v4
	s_cmp_eq_u32 s4, 0
	v_lshl_add_u64 v[2:3], v[2:3], 3, s[0:1]
	s_cbranch_scc1 .LBB6_38
; %bb.37:
	flat_load_dwordx2 v[4:5], v[2:3]
	s_waitcnt vmcnt(0) lgkmcnt(0)
	v_pk_mul_f32 v[6:7], v[4:5], s[24:25] op_sel:[1,1] op_sel_hi:[0,1]
	v_pk_fma_f32 v[8:9], v[4:5], s[24:25], v[6:7] neg_lo:[0,0,1] neg_hi:[0,0,1]
	v_pk_fma_f32 v[4:5], v[4:5], s[24:25], v[6:7] op_sel_hi:[1,0,1]
	s_nop 0
	v_mov_b32_e32 v9, v5
	v_pk_add_f32 v[0:1], v[0:1], v[8:9]
.LBB6_38:
	flat_store_dwordx2 v[2:3], v[0:1]
	s_endpgm
	.section	.rodata,"a",@progbits
	.p2align	6, 0x0
	.amdhsa_kernel _ZL20rocblas_gbmvt_kernelILi32ELi32E24rocblas_internal_val_ptrI19rocblas_complex_numIfEEPKPKS2_PKPS2_Evb18rocblas_operation_iiiiT1_T2_lllSD_lllSC_T3_llli
		.amdhsa_group_segment_fixed_size 0
		.amdhsa_private_segment_fixed_size 0
		.amdhsa_kernarg_size 140
		.amdhsa_user_sgpr_count 2
		.amdhsa_user_sgpr_dispatch_ptr 0
		.amdhsa_user_sgpr_queue_ptr 0
		.amdhsa_user_sgpr_kernarg_segment_ptr 1
		.amdhsa_user_sgpr_dispatch_id 0
		.amdhsa_user_sgpr_kernarg_preload_length 0
		.amdhsa_user_sgpr_kernarg_preload_offset 0
		.amdhsa_user_sgpr_private_segment_size 0
		.amdhsa_uses_dynamic_stack 0
		.amdhsa_enable_private_segment 0
		.amdhsa_system_sgpr_workgroup_id_x 1
		.amdhsa_system_sgpr_workgroup_id_y 0
		.amdhsa_system_sgpr_workgroup_id_z 1
		.amdhsa_system_sgpr_workgroup_info 0
		.amdhsa_system_vgpr_workitem_id 1
		.amdhsa_next_free_vgpr 15
		.amdhsa_next_free_sgpr 38
		.amdhsa_accum_offset 16
		.amdhsa_reserve_vcc 1
		.amdhsa_float_round_mode_32 0
		.amdhsa_float_round_mode_16_64 0
		.amdhsa_float_denorm_mode_32 3
		.amdhsa_float_denorm_mode_16_64 3
		.amdhsa_dx10_clamp 1
		.amdhsa_ieee_mode 1
		.amdhsa_fp16_overflow 0
		.amdhsa_tg_split 0
		.amdhsa_exception_fp_ieee_invalid_op 0
		.amdhsa_exception_fp_denorm_src 0
		.amdhsa_exception_fp_ieee_div_zero 0
		.amdhsa_exception_fp_ieee_overflow 0
		.amdhsa_exception_fp_ieee_underflow 0
		.amdhsa_exception_fp_ieee_inexact 0
		.amdhsa_exception_int_div_zero 0
	.end_amdhsa_kernel
	.section	.text._ZL20rocblas_gbmvt_kernelILi32ELi32E24rocblas_internal_val_ptrI19rocblas_complex_numIfEEPKPKS2_PKPS2_Evb18rocblas_operation_iiiiT1_T2_lllSD_lllSC_T3_llli,"axG",@progbits,_ZL20rocblas_gbmvt_kernelILi32ELi32E24rocblas_internal_val_ptrI19rocblas_complex_numIfEEPKPKS2_PKPS2_Evb18rocblas_operation_iiiiT1_T2_lllSD_lllSC_T3_llli,comdat
.Lfunc_end6:
	.size	_ZL20rocblas_gbmvt_kernelILi32ELi32E24rocblas_internal_val_ptrI19rocblas_complex_numIfEEPKPKS2_PKPS2_Evb18rocblas_operation_iiiiT1_T2_lllSD_lllSC_T3_llli, .Lfunc_end6-_ZL20rocblas_gbmvt_kernelILi32ELi32E24rocblas_internal_val_ptrI19rocblas_complex_numIfEEPKPKS2_PKPS2_Evb18rocblas_operation_iiiiT1_T2_lllSD_lllSC_T3_llli
                                        ; -- End function
	.set _ZL20rocblas_gbmvt_kernelILi32ELi32E24rocblas_internal_val_ptrI19rocblas_complex_numIfEEPKPKS2_PKPS2_Evb18rocblas_operation_iiiiT1_T2_lllSD_lllSC_T3_llli.num_vgpr, 15
	.set _ZL20rocblas_gbmvt_kernelILi32ELi32E24rocblas_internal_val_ptrI19rocblas_complex_numIfEEPKPKS2_PKPS2_Evb18rocblas_operation_iiiiT1_T2_lllSD_lllSC_T3_llli.num_agpr, 0
	.set _ZL20rocblas_gbmvt_kernelILi32ELi32E24rocblas_internal_val_ptrI19rocblas_complex_numIfEEPKPKS2_PKPS2_Evb18rocblas_operation_iiiiT1_T2_lllSD_lllSC_T3_llli.numbered_sgpr, 38
	.set _ZL20rocblas_gbmvt_kernelILi32ELi32E24rocblas_internal_val_ptrI19rocblas_complex_numIfEEPKPKS2_PKPS2_Evb18rocblas_operation_iiiiT1_T2_lllSD_lllSC_T3_llli.num_named_barrier, 0
	.set _ZL20rocblas_gbmvt_kernelILi32ELi32E24rocblas_internal_val_ptrI19rocblas_complex_numIfEEPKPKS2_PKPS2_Evb18rocblas_operation_iiiiT1_T2_lllSD_lllSC_T3_llli.private_seg_size, 0
	.set _ZL20rocblas_gbmvt_kernelILi32ELi32E24rocblas_internal_val_ptrI19rocblas_complex_numIfEEPKPKS2_PKPS2_Evb18rocblas_operation_iiiiT1_T2_lllSD_lllSC_T3_llli.uses_vcc, 1
	.set _ZL20rocblas_gbmvt_kernelILi32ELi32E24rocblas_internal_val_ptrI19rocblas_complex_numIfEEPKPKS2_PKPS2_Evb18rocblas_operation_iiiiT1_T2_lllSD_lllSC_T3_llli.uses_flat_scratch, 0
	.set _ZL20rocblas_gbmvt_kernelILi32ELi32E24rocblas_internal_val_ptrI19rocblas_complex_numIfEEPKPKS2_PKPS2_Evb18rocblas_operation_iiiiT1_T2_lllSD_lllSC_T3_llli.has_dyn_sized_stack, 0
	.set _ZL20rocblas_gbmvt_kernelILi32ELi32E24rocblas_internal_val_ptrI19rocblas_complex_numIfEEPKPKS2_PKPS2_Evb18rocblas_operation_iiiiT1_T2_lllSD_lllSC_T3_llli.has_recursion, 0
	.set _ZL20rocblas_gbmvt_kernelILi32ELi32E24rocblas_internal_val_ptrI19rocblas_complex_numIfEEPKPKS2_PKPS2_Evb18rocblas_operation_iiiiT1_T2_lllSD_lllSC_T3_llli.has_indirect_call, 0
	.section	.AMDGPU.csdata,"",@progbits
; Kernel info:
; codeLenInByte = 1324
; TotalNumSgprs: 44
; NumVgprs: 15
; NumAgprs: 0
; TotalNumVgprs: 15
; ScratchSize: 0
; MemoryBound: 0
; FloatMode: 240
; IeeeMode: 1
; LDSByteSize: 0 bytes/workgroup (compile time only)
; SGPRBlocks: 5
; VGPRBlocks: 1
; NumSGPRsForWavesPerEU: 44
; NumVGPRsForWavesPerEU: 15
; AccumOffset: 16
; Occupancy: 8
; WaveLimiterHint : 1
; COMPUTE_PGM_RSRC2:SCRATCH_EN: 0
; COMPUTE_PGM_RSRC2:USER_SGPR: 2
; COMPUTE_PGM_RSRC2:TRAP_HANDLER: 0
; COMPUTE_PGM_RSRC2:TGID_X_EN: 1
; COMPUTE_PGM_RSRC2:TGID_Y_EN: 0
; COMPUTE_PGM_RSRC2:TGID_Z_EN: 1
; COMPUTE_PGM_RSRC2:TIDIG_COMP_CNT: 1
; COMPUTE_PGM_RSRC3_GFX90A:ACCUM_OFFSET: 3
; COMPUTE_PGM_RSRC3_GFX90A:TG_SPLIT: 0
	.section	.text._ZL20rocblas_gbmvt_kernelILi64ELi16E24rocblas_internal_val_ptrI19rocblas_complex_numIfEEPKPKS2_PKPS2_Evb18rocblas_operation_iiiiT1_T2_lllSD_lllSC_T3_llli,"axG",@progbits,_ZL20rocblas_gbmvt_kernelILi64ELi16E24rocblas_internal_val_ptrI19rocblas_complex_numIfEEPKPKS2_PKPS2_Evb18rocblas_operation_iiiiT1_T2_lllSD_lllSC_T3_llli,comdat
	.globl	_ZL20rocblas_gbmvt_kernelILi64ELi16E24rocblas_internal_val_ptrI19rocblas_complex_numIfEEPKPKS2_PKPS2_Evb18rocblas_operation_iiiiT1_T2_lllSD_lllSC_T3_llli ; -- Begin function _ZL20rocblas_gbmvt_kernelILi64ELi16E24rocblas_internal_val_ptrI19rocblas_complex_numIfEEPKPKS2_PKPS2_Evb18rocblas_operation_iiiiT1_T2_lllSD_lllSC_T3_llli
	.p2align	8
	.type	_ZL20rocblas_gbmvt_kernelILi64ELi16E24rocblas_internal_val_ptrI19rocblas_complex_numIfEEPKPKS2_PKPS2_Evb18rocblas_operation_iiiiT1_T2_lllSD_lllSC_T3_llli,@function
_ZL20rocblas_gbmvt_kernelILi64ELi16E24rocblas_internal_val_ptrI19rocblas_complex_numIfEEPKPKS2_PKPS2_Evb18rocblas_operation_iiiiT1_T2_lllSD_lllSC_T3_llli: ; @_ZL20rocblas_gbmvt_kernelILi64ELi16E24rocblas_internal_val_ptrI19rocblas_complex_numIfEEPKPKS2_PKPS2_Evb18rocblas_operation_iiiiT1_T2_lllSD_lllSC_T3_llli
; %bb.0:
	s_load_dwordx4 s[20:23], s[0:1], 0x0
	s_load_dwordx8 s[12:19], s[0:1], 0x18
	s_mov_b32 s28, s3
	s_mov_b64 s[30:31], -1
                                        ; implicit-def: $sgpr26_sgpr27
	s_waitcnt lgkmcnt(0)
	s_bitcmp1_b32 s20, 0
	s_cselect_b64 s[4:5], -1, 0
	s_xor_b64 s[24:25], s[4:5], -1
	s_and_b64 vcc, exec, s[24:25]
	s_cbranch_vccnz .LBB7_4
; %bb.1:
	s_load_dwordx8 s[4:11], s[0:1], 0x60
	s_andn2_b64 vcc, exec, s[30:31]
	s_cbranch_vccz .LBB7_5
.LBB7_2:
	s_and_b64 vcc, exec, s[24:25]
	s_cbranch_vccz .LBB7_6
.LBB7_3:
	s_waitcnt lgkmcnt(0)
	s_load_dwordx2 s[24:25], s[4:5], 0x0
	s_cbranch_execz .LBB7_7
	s_branch .LBB7_8
.LBB7_4:
	s_load_dwordx2 s[26:27], s[12:13], 0x0
	s_load_dwordx8 s[4:11], s[0:1], 0x60
	s_cbranch_execnz .LBB7_2
.LBB7_5:
	s_waitcnt lgkmcnt(0)
	s_mov_b64 s[26:27], s[12:13]
	s_and_b64 vcc, exec, s[24:25]
	s_cbranch_vccnz .LBB7_3
.LBB7_6:
                                        ; implicit-def: $sgpr24_sgpr25
.LBB7_7:
	s_waitcnt lgkmcnt(0)
	s_mov_b64 s[24:25], s[4:5]
.LBB7_8:
	s_waitcnt lgkmcnt(0)
	s_or_b32 s3, s26, s27
	s_bitset0_b32 s3, 31
	s_cmp_lg_u32 s3, 0
	s_cselect_b64 s[36:37], -1, 0
	s_cmp_eq_u32 s3, 0
	s_cselect_b64 s[12:13], -1, 0
	s_mov_b64 s[4:5], -1
	s_and_b64 vcc, exec, s[36:37]
	s_cbranch_vccnz .LBB7_10
; %bb.9:
	s_and_b32 s3, s25, 0x7fffffff
	s_cmp_lg_u32 s3, 0
	v_cmp_neq_f32_e64 s[4:5], s24, 1.0
	s_cselect_b64 s[30:31], -1, 0
	s_or_b64 s[4:5], s[4:5], s[30:31]
.LBB7_10:
	s_andn2_b64 vcc, exec, s[4:5]
	s_cbranch_vccnz .LBB7_21
; %bb.11:
	s_load_dwordx2 s[4:5], s[0:1], 0x10
	s_andn2_b64 vcc, exec, s[12:13]
	s_mov_b32 s29, 0
	s_cbranch_vccnz .LBB7_13
; %bb.12:
	s_mov_b64 s[30:31], 0
	s_mov_b64 s[34:35], 0
	s_cbranch_execz .LBB7_14
	s_branch .LBB7_15
.LBB7_13:
	s_mov_b64 s[30:31], 0
	s_mov_b64 s[34:35], 0
.LBB7_14:
	s_lshl_b64 s[12:13], s[28:29], 3
	s_add_u32 s12, s14, s12
	s_addc_u32 s13, s15, s13
	s_load_dwordx2 s[12:13], s[12:13], 0x0
	s_lshl_b64 s[14:15], s[16:17], 3
	s_waitcnt lgkmcnt(0)
	s_add_u32 s34, s12, s14
	s_addc_u32 s35, s13, s15
.LBB7_15:
	s_load_dwordx4 s[12:15], s[0:1], 0x40
	s_load_dwordx2 s[16:17], s[0:1], 0x50
	s_andn2_b64 vcc, exec, s[36:37]
	s_cbranch_vccnz .LBB7_17
; %bb.16:
	s_lshl_b64 s[0:1], s[28:29], 3
	s_waitcnt lgkmcnt(0)
	s_add_u32 s0, s12, s0
	s_addc_u32 s1, s13, s1
	s_load_dwordx2 s[0:1], s[0:1], 0x0
	s_lshl_b64 s[12:13], s[14:15], 3
	s_waitcnt lgkmcnt(0)
	s_add_u32 s30, s0, s12
	s_addc_u32 s31, s1, s13
.LBB7_17:
	v_bfe_u32 v1, v0, 10, 10
	v_lshl_add_u32 v8, s2, 4, v1
	v_cmp_gt_i32_e32 vcc, s23, v8
	s_and_saveexec_b64 s[0:1], vcc
	s_cbranch_execz .LBB7_21
; %bb.18:
	s_lshl_b64 s[0:1], s[28:29], 3
	s_add_u32 s0, s6, s0
	s_addc_u32 s1, s7, s1
	v_cmp_neq_f32_e64 s[2:3], s26, 0
	v_cmp_neq_f32_e64 s[6:7], s27, 0
	s_or_b64 s[2:3], s[2:3], s[6:7]
	s_and_b64 vcc, exec, s[2:3]
	s_cbranch_vccnz .LBB7_22
; %bb.19:
	v_and_b32_e32 v9, 0x3ff, v0
	s_load_dwordx2 s[2:3], s[0:1], 0x0
	s_cbranch_execz .LBB7_23
; %bb.20:
	v_mov_b32_e32 v0, 0
	v_mov_b32_e32 v1, v0
	v_cmp_eq_u32_e32 vcc, 0, v9
	s_and_b64 exec, exec, vcc
	s_cbranch_execnz .LBB7_36
.LBB7_21:
	s_endpgm
.LBB7_22:
                                        ; implicit-def: $vgpr9
	s_load_dwordx2 s[2:3], s[0:1], 0x0
.LBB7_23:
	v_and_b32_e32 v9, 0x3ff, v0
	s_waitcnt lgkmcnt(0)
	s_add_i32 s4, s5, s4
	v_cmp_ge_i32_e32 vcc, s4, v9
	v_mov_b32_e32 v1, 0
	v_mov_b32_e32 v0, 0
	s_and_saveexec_b64 s[6:7], vcc
	s_cbranch_execz .LBB7_35
; %bb.24:
	v_ashrrev_i32_e32 v4, 31, v8
	v_mul_lo_u32 v0, s19, v8
	v_mul_lo_u32 v1, s18, v4
	v_mad_u64_u32 v[2:3], s[0:1], s18, v8, 0
	v_add3_u32 v3, v3, v1, v0
	v_lshlrev_b32_e32 v0, 3, v9
	v_mov_b32_e32 v1, 0
	v_sub_u32_e32 v10, s5, v9
	v_lshl_add_u64 v[2:3], v[2:3], 3, v[0:1]
	v_ashrrev_i32_e32 v0, 31, v10
	v_sub_co_u32_e32 v5, vcc, v8, v10
	v_mul_lo_u32 v6, s17, v5
	s_nop 0
	v_subb_co_u32_e32 v0, vcc, v4, v0, vcc
	v_mul_lo_u32 v0, s16, v0
	v_mad_u64_u32 v[4:5], s[0:1], s16, v5, 0
	s_cmpk_lg_i32 s21, 0x71
	v_add3_u32 v5, v5, v0, v6
	s_cselect_b64 s[12:13], -1, 0
	v_lshl_add_u64 v[2:3], s[34:35], 0, v[2:3]
	v_lshl_add_u64 v[4:5], v[4:5], 3, s[30:31]
	s_lshl_b64 s[16:17], s[16:17], 9
	s_mov_b64 s[14:15], 0
	s_mov_b64 s[18:19], 0x200
	v_mov_b32_e32 v11, v9
	v_mov_b32_e32 v0, v1
	s_branch .LBB7_28
.LBB7_25:                               ;   in Loop: Header=BB7_28 Depth=1
	flat_load_dwordx2 v[12:13], v[4:5]
	s_waitcnt vmcnt(0) lgkmcnt(0)
	v_mul_f32_e32 v14, v7, v13
	v_mul_f32_e32 v13, v13, v6
	v_fma_f32 v6, v12, v6, -v14
	v_fmac_f32_e32 v13, v7, v12
	v_add_f32_e32 v0, v0, v6
	v_add_f32_e32 v1, v1, v13
.LBB7_26:                               ;   in Loop: Header=BB7_28 Depth=1
	s_or_b64 exec, exec, s[0:1]
.LBB7_27:                               ;   in Loop: Header=BB7_28 Depth=1
	s_or_b64 exec, exec, s[20:21]
	v_add_u32_e32 v11, 64, v11
	v_cmp_lt_i32_e32 vcc, s4, v11
	v_lshl_add_u64 v[2:3], v[2:3], 0, s[18:19]
	v_lshl_add_u64 v[4:5], v[4:5], 0, s[16:17]
	s_or_b64 s[14:15], vcc, s[14:15]
	v_subrev_u32_e32 v10, 64, v10
	s_andn2_b64 exec, exec, s[14:15]
	s_cbranch_execz .LBB7_34
.LBB7_28:                               ; =>This Inner Loop Header: Depth=1
	v_add_u32_e32 v6, s22, v10
	v_cmp_lt_i32_e32 vcc, v8, v6
	s_and_saveexec_b64 s[20:21], vcc
	s_cbranch_execz .LBB7_27
; %bb.29:                               ;   in Loop: Header=BB7_28 Depth=1
	v_cmp_lt_i32_e32 vcc, s5, v11
	v_cmp_ge_i32_e64 s[0:1], v8, v10
	s_or_b64 s[28:29], vcc, s[0:1]
	s_and_saveexec_b64 s[0:1], s[28:29]
	s_cbranch_execz .LBB7_26
; %bb.30:                               ;   in Loop: Header=BB7_28 Depth=1
	s_mov_b64 s[28:29], -1
	s_and_b64 vcc, exec, s[12:13]
                                        ; implicit-def: $vgpr7
	s_cbranch_vccz .LBB7_32
; %bb.31:                               ;   in Loop: Header=BB7_28 Depth=1
	flat_load_dwordx2 v[6:7], v[2:3]
	s_mov_b64 s[28:29], 0
.LBB7_32:                               ;   in Loop: Header=BB7_28 Depth=1
	s_andn2_b64 vcc, exec, s[28:29]
	s_cbranch_vccnz .LBB7_25
; %bb.33:                               ;   in Loop: Header=BB7_28 Depth=1
	s_waitcnt vmcnt(0) lgkmcnt(0)
	flat_load_dwordx2 v[6:7], v[2:3]
	s_waitcnt vmcnt(0) lgkmcnt(0)
	v_xor_b32_e32 v7, 0x80000000, v7
	s_branch .LBB7_25
.LBB7_34:
	s_or_b64 exec, exec, s[14:15]
.LBB7_35:
	s_or_b64 exec, exec, s[6:7]
	v_mbcnt_lo_u32_b32 v2, -1, 0
	v_mbcnt_hi_u32_b32 v2, -1, v2
	v_mov_b32_e32 v3, 0x80
	v_lshl_or_b32 v3, v2, 2, v3
	ds_bpermute_b32 v4, v3, v0
	ds_bpermute_b32 v3, v3, v1
	v_and_b32_e32 v5, 63, v2
	v_cmp_gt_u32_e32 vcc, 48, v5
	s_waitcnt lgkmcnt(0)
	v_add_f32_e32 v0, v0, v4
	v_add_f32_e32 v1, v1, v3
	v_cndmask_b32_e64 v3, 0, 16, vcc
	v_add_lshl_u32 v3, v3, v2, 2
	ds_bpermute_b32 v4, v3, v0
	ds_bpermute_b32 v3, v3, v1
	v_cmp_gt_u32_e32 vcc, 56, v5
	s_barrier
	s_waitcnt lgkmcnt(0)
	v_add_f32_e32 v0, v0, v4
	v_add_f32_e32 v1, v1, v3
	v_cndmask_b32_e64 v3, 0, 8, vcc
	v_add_lshl_u32 v3, v3, v2, 2
	ds_bpermute_b32 v4, v3, v0
	ds_bpermute_b32 v3, v3, v1
	v_cmp_gt_u32_e32 vcc, 60, v5
	s_waitcnt lgkmcnt(1)
	v_add_f32_e32 v0, v0, v4
	s_waitcnt lgkmcnt(0)
	v_add_f32_e32 v1, v1, v3
	v_cndmask_b32_e64 v3, 0, 4, vcc
	v_add_lshl_u32 v3, v3, v2, 2
	ds_bpermute_b32 v4, v3, v0
	ds_bpermute_b32 v3, v3, v1
	v_cmp_gt_u32_e32 vcc, 62, v5
	s_waitcnt lgkmcnt(1)
	v_add_f32_e32 v0, v0, v4
	s_waitcnt lgkmcnt(0)
	v_add_f32_e32 v1, v1, v3
	v_cndmask_b32_e64 v3, 0, 2, vcc
	v_add_lshl_u32 v3, v3, v2, 2
	ds_bpermute_b32 v4, v3, v0
	ds_bpermute_b32 v3, v3, v1
	v_cmp_ne_u32_e32 vcc, 63, v5
	s_waitcnt lgkmcnt(1)
	v_add_f32_e32 v0, v0, v4
	v_addc_co_u32_e32 v2, vcc, 0, v2, vcc
	s_waitcnt lgkmcnt(0)
	v_add_f32_e32 v1, v1, v3
	v_lshlrev_b32_e32 v2, 2, v2
	ds_bpermute_b32 v3, v2, v0
	ds_bpermute_b32 v4, v2, v1
	s_waitcnt lgkmcnt(1)
	v_add_f32_e32 v2, v0, v3
	s_waitcnt lgkmcnt(0)
	v_add_f32_e32 v0, v1, v4
	v_pk_mul_f32 v[4:5], v[0:1], s[26:27] op_sel:[0,1] op_sel_hi:[0,0]
	v_pk_fma_f32 v[0:1], v[2:3], s[26:27], v[4:5] neg_lo:[0,0,1] neg_hi:[0,0,1]
	v_pk_fma_f32 v[2:3], v[2:3], s[26:27], v[4:5] op_sel_hi:[0,1,1]
	v_mov_b32_e32 v1, v3
	v_cmp_eq_u32_e32 vcc, 0, v9
	s_and_b64 exec, exec, vcc
	s_cbranch_execz .LBB7_21
.LBB7_36:
	s_lshl_b64 s[0:1], s[8:9], 3
	s_waitcnt lgkmcnt(0)
	s_add_u32 s0, s2, s0
	s_addc_u32 s1, s3, s1
	s_or_b32 s2, s24, s25
	v_ashrrev_i32_e32 v2, 31, v8
	s_and_b32 s4, s2, 0x7fffffff
	v_mul_lo_u32 v4, s11, v8
	v_mul_lo_u32 v5, s10, v2
	v_mad_u64_u32 v[2:3], s[2:3], s10, v8, 0
	v_add3_u32 v3, v3, v5, v4
	s_cmp_eq_u32 s4, 0
	v_lshl_add_u64 v[2:3], v[2:3], 3, s[0:1]
	s_cbranch_scc1 .LBB7_38
; %bb.37:
	flat_load_dwordx2 v[4:5], v[2:3]
	s_waitcnt vmcnt(0) lgkmcnt(0)
	v_pk_mul_f32 v[6:7], v[4:5], s[24:25] op_sel:[1,1] op_sel_hi:[0,1]
	v_pk_fma_f32 v[8:9], v[4:5], s[24:25], v[6:7] neg_lo:[0,0,1] neg_hi:[0,0,1]
	v_pk_fma_f32 v[4:5], v[4:5], s[24:25], v[6:7] op_sel_hi:[1,0,1]
	s_nop 0
	v_mov_b32_e32 v9, v5
	v_pk_add_f32 v[0:1], v[0:1], v[8:9]
.LBB7_38:
	flat_store_dwordx2 v[2:3], v[0:1]
	s_endpgm
	.section	.rodata,"a",@progbits
	.p2align	6, 0x0
	.amdhsa_kernel _ZL20rocblas_gbmvt_kernelILi64ELi16E24rocblas_internal_val_ptrI19rocblas_complex_numIfEEPKPKS2_PKPS2_Evb18rocblas_operation_iiiiT1_T2_lllSD_lllSC_T3_llli
		.amdhsa_group_segment_fixed_size 0
		.amdhsa_private_segment_fixed_size 0
		.amdhsa_kernarg_size 140
		.amdhsa_user_sgpr_count 2
		.amdhsa_user_sgpr_dispatch_ptr 0
		.amdhsa_user_sgpr_queue_ptr 0
		.amdhsa_user_sgpr_kernarg_segment_ptr 1
		.amdhsa_user_sgpr_dispatch_id 0
		.amdhsa_user_sgpr_kernarg_preload_length 0
		.amdhsa_user_sgpr_kernarg_preload_offset 0
		.amdhsa_user_sgpr_private_segment_size 0
		.amdhsa_uses_dynamic_stack 0
		.amdhsa_enable_private_segment 0
		.amdhsa_system_sgpr_workgroup_id_x 1
		.amdhsa_system_sgpr_workgroup_id_y 0
		.amdhsa_system_sgpr_workgroup_id_z 1
		.amdhsa_system_sgpr_workgroup_info 0
		.amdhsa_system_vgpr_workitem_id 1
		.amdhsa_next_free_vgpr 15
		.amdhsa_next_free_sgpr 38
		.amdhsa_accum_offset 16
		.amdhsa_reserve_vcc 1
		.amdhsa_float_round_mode_32 0
		.amdhsa_float_round_mode_16_64 0
		.amdhsa_float_denorm_mode_32 3
		.amdhsa_float_denorm_mode_16_64 3
		.amdhsa_dx10_clamp 1
		.amdhsa_ieee_mode 1
		.amdhsa_fp16_overflow 0
		.amdhsa_tg_split 0
		.amdhsa_exception_fp_ieee_invalid_op 0
		.amdhsa_exception_fp_denorm_src 0
		.amdhsa_exception_fp_ieee_div_zero 0
		.amdhsa_exception_fp_ieee_overflow 0
		.amdhsa_exception_fp_ieee_underflow 0
		.amdhsa_exception_fp_ieee_inexact 0
		.amdhsa_exception_int_div_zero 0
	.end_amdhsa_kernel
	.section	.text._ZL20rocblas_gbmvt_kernelILi64ELi16E24rocblas_internal_val_ptrI19rocblas_complex_numIfEEPKPKS2_PKPS2_Evb18rocblas_operation_iiiiT1_T2_lllSD_lllSC_T3_llli,"axG",@progbits,_ZL20rocblas_gbmvt_kernelILi64ELi16E24rocblas_internal_val_ptrI19rocblas_complex_numIfEEPKPKS2_PKPS2_Evb18rocblas_operation_iiiiT1_T2_lllSD_lllSC_T3_llli,comdat
.Lfunc_end7:
	.size	_ZL20rocblas_gbmvt_kernelILi64ELi16E24rocblas_internal_val_ptrI19rocblas_complex_numIfEEPKPKS2_PKPS2_Evb18rocblas_operation_iiiiT1_T2_lllSD_lllSC_T3_llli, .Lfunc_end7-_ZL20rocblas_gbmvt_kernelILi64ELi16E24rocblas_internal_val_ptrI19rocblas_complex_numIfEEPKPKS2_PKPS2_Evb18rocblas_operation_iiiiT1_T2_lllSD_lllSC_T3_llli
                                        ; -- End function
	.set _ZL20rocblas_gbmvt_kernelILi64ELi16E24rocblas_internal_val_ptrI19rocblas_complex_numIfEEPKPKS2_PKPS2_Evb18rocblas_operation_iiiiT1_T2_lllSD_lllSC_T3_llli.num_vgpr, 15
	.set _ZL20rocblas_gbmvt_kernelILi64ELi16E24rocblas_internal_val_ptrI19rocblas_complex_numIfEEPKPKS2_PKPS2_Evb18rocblas_operation_iiiiT1_T2_lllSD_lllSC_T3_llli.num_agpr, 0
	.set _ZL20rocblas_gbmvt_kernelILi64ELi16E24rocblas_internal_val_ptrI19rocblas_complex_numIfEEPKPKS2_PKPS2_Evb18rocblas_operation_iiiiT1_T2_lllSD_lllSC_T3_llli.numbered_sgpr, 38
	.set _ZL20rocblas_gbmvt_kernelILi64ELi16E24rocblas_internal_val_ptrI19rocblas_complex_numIfEEPKPKS2_PKPS2_Evb18rocblas_operation_iiiiT1_T2_lllSD_lllSC_T3_llli.num_named_barrier, 0
	.set _ZL20rocblas_gbmvt_kernelILi64ELi16E24rocblas_internal_val_ptrI19rocblas_complex_numIfEEPKPKS2_PKPS2_Evb18rocblas_operation_iiiiT1_T2_lllSD_lllSC_T3_llli.private_seg_size, 0
	.set _ZL20rocblas_gbmvt_kernelILi64ELi16E24rocblas_internal_val_ptrI19rocblas_complex_numIfEEPKPKS2_PKPS2_Evb18rocblas_operation_iiiiT1_T2_lllSD_lllSC_T3_llli.uses_vcc, 1
	.set _ZL20rocblas_gbmvt_kernelILi64ELi16E24rocblas_internal_val_ptrI19rocblas_complex_numIfEEPKPKS2_PKPS2_Evb18rocblas_operation_iiiiT1_T2_lllSD_lllSC_T3_llli.uses_flat_scratch, 0
	.set _ZL20rocblas_gbmvt_kernelILi64ELi16E24rocblas_internal_val_ptrI19rocblas_complex_numIfEEPKPKS2_PKPS2_Evb18rocblas_operation_iiiiT1_T2_lllSD_lllSC_T3_llli.has_dyn_sized_stack, 0
	.set _ZL20rocblas_gbmvt_kernelILi64ELi16E24rocblas_internal_val_ptrI19rocblas_complex_numIfEEPKPKS2_PKPS2_Evb18rocblas_operation_iiiiT1_T2_lllSD_lllSC_T3_llli.has_recursion, 0
	.set _ZL20rocblas_gbmvt_kernelILi64ELi16E24rocblas_internal_val_ptrI19rocblas_complex_numIfEEPKPKS2_PKPS2_Evb18rocblas_operation_iiiiT1_T2_lllSD_lllSC_T3_llli.has_indirect_call, 0
	.section	.AMDGPU.csdata,"",@progbits
; Kernel info:
; codeLenInByte = 1364
; TotalNumSgprs: 44
; NumVgprs: 15
; NumAgprs: 0
; TotalNumVgprs: 15
; ScratchSize: 0
; MemoryBound: 0
; FloatMode: 240
; IeeeMode: 1
; LDSByteSize: 0 bytes/workgroup (compile time only)
; SGPRBlocks: 5
; VGPRBlocks: 1
; NumSGPRsForWavesPerEU: 44
; NumVGPRsForWavesPerEU: 15
; AccumOffset: 16
; Occupancy: 8
; WaveLimiterHint : 1
; COMPUTE_PGM_RSRC2:SCRATCH_EN: 0
; COMPUTE_PGM_RSRC2:USER_SGPR: 2
; COMPUTE_PGM_RSRC2:TRAP_HANDLER: 0
; COMPUTE_PGM_RSRC2:TGID_X_EN: 1
; COMPUTE_PGM_RSRC2:TGID_Y_EN: 0
; COMPUTE_PGM_RSRC2:TGID_Z_EN: 1
; COMPUTE_PGM_RSRC2:TIDIG_COMP_CNT: 1
; COMPUTE_PGM_RSRC3_GFX90A:ACCUM_OFFSET: 3
; COMPUTE_PGM_RSRC3_GFX90A:TG_SPLIT: 0
	.section	.text._ZL20rocblas_gbmvn_kernelILi32ELi32E24rocblas_internal_val_ptrI19rocblas_complex_numIdEEPKPKS2_PKPS2_EvbiiiiT1_T2_lllSC_lllSB_T3_llli,"axG",@progbits,_ZL20rocblas_gbmvn_kernelILi32ELi32E24rocblas_internal_val_ptrI19rocblas_complex_numIdEEPKPKS2_PKPS2_EvbiiiiT1_T2_lllSC_lllSB_T3_llli,comdat
	.globl	_ZL20rocblas_gbmvn_kernelILi32ELi32E24rocblas_internal_val_ptrI19rocblas_complex_numIdEEPKPKS2_PKPS2_EvbiiiiT1_T2_lllSC_lllSB_T3_llli ; -- Begin function _ZL20rocblas_gbmvn_kernelILi32ELi32E24rocblas_internal_val_ptrI19rocblas_complex_numIdEEPKPKS2_PKPS2_EvbiiiiT1_T2_lllSC_lllSB_T3_llli
	.p2align	8
	.type	_ZL20rocblas_gbmvn_kernelILi32ELi32E24rocblas_internal_val_ptrI19rocblas_complex_numIdEEPKPKS2_PKPS2_EvbiiiiT1_T2_lllSC_lllSB_T3_llli,@function
_ZL20rocblas_gbmvn_kernelILi32ELi32E24rocblas_internal_val_ptrI19rocblas_complex_numIdEEPKPKS2_PKPS2_EvbiiiiT1_T2_lllSC_lllSB_T3_llli: ; @_ZL20rocblas_gbmvn_kernelILi32ELi32E24rocblas_internal_val_ptrI19rocblas_complex_numIdEEPKPKS2_PKPS2_EvbiiiiT1_T2_lllSC_lllSB_T3_llli
; %bb.0:
	s_load_dwordx4 s[20:23], s[0:1], 0x0
	s_load_dwordx2 s[14:15], s[0:1], 0x18
	s_load_dwordx2 s[24:25], s[0:1], 0x88
	s_load_dwordx8 s[4:11], s[0:1], 0x68
	s_mov_b32 s30, s3
	s_mov_b64 s[26:27], -1
	s_waitcnt lgkmcnt(0)
	s_bitcmp1_b32 s20, 0
	s_cselect_b64 s[12:13], -1, 0
	s_xor_b64 s[12:13], s[12:13], -1
	s_and_b64 vcc, exec, s[12:13]
                                        ; implicit-def: $sgpr18_sgpr19
	s_cbranch_vccnz .LBB8_4
; %bb.1:
	s_andn2_b64 vcc, exec, s[26:27]
	s_cbranch_vccz .LBB8_5
.LBB8_2:
	s_and_b64 vcc, exec, s[12:13]
	s_cbranch_vccz .LBB8_6
.LBB8_3:
	s_load_dwordx4 s[12:15], s[4:5], 0x0
	s_cbranch_execz .LBB8_7
	s_branch .LBB8_8
.LBB8_4:
	s_load_dwordx4 s[16:19], s[14:15], 0x0
	s_cbranch_execnz .LBB8_2
.LBB8_5:
	s_waitcnt lgkmcnt(0)
	s_load_dwordx2 s[18:19], s[0:1], 0x20
	s_mov_b64 s[16:17], s[14:15]
	s_and_b64 vcc, exec, s[12:13]
	s_cbranch_vccnz .LBB8_3
.LBB8_6:
                                        ; implicit-def: $sgpr14_sgpr15
.LBB8_7:
	s_waitcnt lgkmcnt(0)
	s_mov_b64 s[12:13], s[4:5]
	s_mov_b64 s[14:15], s[6:7]
.LBB8_8:
	s_load_dwordx4 s[4:7], s[0:1], 0x28
	s_load_dwordx2 s[26:27], s[0:1], 0x38
	s_waitcnt lgkmcnt(0)
	v_cmp_neq_f64_e64 s[34:35], s[16:17], 0
	v_cmp_neq_f64_e64 s[36:37], s[18:19], 0
	s_or_b64 s[34:35], s[34:35], s[36:37]
	s_mov_b32 s31, 0
	s_mov_b64 s[28:29], 0
	s_mov_b64 s[36:37], -1
	s_and_b64 vcc, exec, s[34:35]
	s_mov_b64 s[38:39], s[30:31]
	s_mov_b64 s[40:41], 0
	s_cbranch_vccnz .LBB8_11
; %bb.9:
	v_cmp_eq_f64_e64 s[38:39], s[12:13], 1.0
	v_cmp_eq_f64_e64 s[40:41], s[14:15], 0
	s_and_b64 s[38:39], s[38:39], s[40:41]
	s_mov_b64 s[36:37], 0
	s_andn2_b64 vcc, exec, s[38:39]
	s_mov_b64 s[40:41], 0
                                        ; implicit-def: $sgpr38_sgpr39
	s_cbranch_vccz .LBB8_11
; %bb.10:
	s_mov_b32 s39, 0
	s_mov_b32 s38, s30
	s_mov_b64 s[40:41], -1
.LBB8_11:
	s_and_b64 vcc, exec, s[36:37]
	s_cbranch_vccz .LBB8_13
; %bb.12:
	s_lshl_b64 s[28:29], s[30:31], 3
	s_add_u32 s4, s4, s28
	s_addc_u32 s5, s5, s29
	s_load_dwordx2 s[4:5], s[4:5], 0x0
	s_lshl_b64 s[6:7], s[6:7], 4
	s_mov_b64 s[40:41], -1
	s_waitcnt lgkmcnt(0)
	s_add_u32 s28, s4, s6
	s_addc_u32 s29, s5, s7
.LBB8_13:
	s_andn2_b64 vcc, exec, s[40:41]
	s_cbranch_vccnz .LBB8_32
; %bb.14:
	s_load_dword s20, s[0:1], 0x10
	s_load_dwordx4 s[4:7], s[0:1], 0x48
	s_load_dwordx2 s[30:31], s[0:1], 0x58
	s_andn2_b64 vcc, exec, s[34:35]
	s_mov_b64 s[36:37], 0
	s_cbranch_vccnz .LBB8_16
; %bb.15:
	s_lshl_b64 s[0:1], s[38:39], 3
	s_waitcnt lgkmcnt(0)
	s_add_u32 s0, s4, s0
	s_addc_u32 s1, s5, s1
	s_load_dwordx2 s[0:1], s[0:1], 0x0
	s_lshl_b64 s[4:5], s[6:7], 4
	s_waitcnt lgkmcnt(0)
	s_add_u32 s36, s0, s4
	s_addc_u32 s37, s1, s5
.LBB8_16:
	v_bfe_u32 v1, v0, 10, 10
	v_lshl_add_u32 v8, s2, 5, v1
	v_cmp_gt_i32_e32 vcc, s21, v8
	s_and_saveexec_b64 s[0:1], vcc
	s_cbranch_execz .LBB8_32
; %bb.17:
	s_xor_b64 s[2:3], s[34:35], -1
	s_lshl_b64 s[0:1], s[38:39], 3
	s_add_u32 s0, s8, s0
	s_addc_u32 s1, s9, s1
	s_andn2_b64 vcc, exec, s[2:3]
	s_cbranch_vccnz .LBB8_19
; %bb.18:
	s_mov_b64 s[2:3], 0
	v_and_b32_e32 v9, 0x3ff, v0
	s_branch .LBB8_20
.LBB8_19:
	s_mov_b64 s[2:3], -1
                                        ; implicit-def: $vgpr9
.LBB8_20:
	s_load_dwordx2 s[0:1], s[0:1], 0x0
	v_mov_b64_e32 v[4:5], 0
	s_andn2_b64 vcc, exec, s[2:3]
	v_mov_b64_e32 v[2:3], 0
	s_cbranch_vccnz .LBB8_28
; %bb.21:
	v_and_b32_e32 v9, 0x3ff, v0
	v_min_i32_e32 v6, s23, v8
	s_waitcnt lgkmcnt(0)
	v_sub_u32_e32 v0, s20, v9
	v_add_u32_e32 v4, v0, v6
	v_cmp_lt_i32_e32 vcc, -1, v4
	v_mov_b64_e32 v[0:1], 0
	v_mov_b64_e32 v[2:3], 0
	s_and_saveexec_b64 s[2:3], vcc
	s_cbranch_execz .LBB8_27
; %bb.22:
	v_subrev_u32_e32 v0, s23, v8
	v_max_i32_e32 v0, 0, v0
	v_add_u32_e32 v10, v0, v9
	v_ashrrev_i32_e32 v7, 31, v10
	v_mul_lo_u32 v2, s26, v7
	v_mul_lo_u32 v3, s27, v10
	v_mad_u64_u32 v[0:1], s[4:5], s26, v10, 0
	v_mov_b32_e32 v5, 0
	v_add3_u32 v1, v1, v2, v3
	v_lshlrev_b64 v[2:3], 4, v[4:5]
	v_lshl_add_u64 v[0:1], v[0:1], 4, v[2:3]
	v_lshl_add_u64 v[4:5], s[28:29], 0, v[0:1]
	v_add_u32_e32 v0, s20, v6
	v_sub_u32_e32 v0, v0, v9
	s_lshl_b64 s[4:5], s[26:27], 9
	v_add_u32_e32 v11, 32, v0
	v_mul_lo_u32 v2, s30, v7
	v_mul_lo_u32 v3, s31, v10
	v_mad_u64_u32 v[0:1], s[6:7], s30, v10, 0
	s_add_u32 s4, s4, 0xfffffe00
	v_add3_u32 v1, v1, v2, v3
	s_addc_u32 s5, s5, -1
	v_lshl_add_u64 v[6:7], v[0:1], 4, s[36:37]
	s_lshl_b64 s[6:7], s[30:31], 9
	v_mov_b64_e32 v[0:1], 0
	s_mov_b64 s[8:9], 0
	v_mov_b64_e32 v[2:3], 0
	s_branch .LBB8_24
.LBB8_23:                               ;   in Loop: Header=BB8_24 Depth=1
	s_or_b64 exec, exec, s[20:21]
	v_subrev_u32_e32 v11, 32, v11
	v_cmp_gt_u32_e32 vcc, 32, v11
	v_add_u32_e32 v10, 32, v10
	v_lshl_add_u64 v[4:5], v[4:5], 0, s[4:5]
	s_or_b64 s[8:9], vcc, s[8:9]
	v_lshl_add_u64 v[6:7], v[6:7], 0, s[6:7]
	s_andn2_b64 exec, exec, s[8:9]
	s_cbranch_execz .LBB8_26
.LBB8_24:                               ; =>This Inner Loop Header: Depth=1
	v_cmp_gt_i32_e32 vcc, s22, v10
	s_and_saveexec_b64 s[20:21], vcc
	s_cbranch_execz .LBB8_23
; %bb.25:                               ;   in Loop: Header=BB8_24 Depth=1
	flat_load_dwordx4 v[12:15], v[6:7]
	flat_load_dwordx4 v[16:19], v[4:5]
	s_waitcnt vmcnt(0) lgkmcnt(0)
	v_mul_f64 v[20:21], v[14:15], v[18:19]
	v_mul_f64 v[18:19], v[12:13], v[18:19]
	v_fma_f64 v[12:13], v[12:13], v[16:17], -v[20:21]
	v_fmac_f64_e32 v[18:19], v[14:15], v[16:17]
	v_add_f64 v[2:3], v[2:3], v[12:13]
	v_add_f64 v[0:1], v[0:1], v[18:19]
	s_branch .LBB8_23
.LBB8_26:
	s_or_b64 exec, exec, s[8:9]
.LBB8_27:
	s_or_b64 exec, exec, s[2:3]
	v_mbcnt_lo_u32_b32 v4, -1, 0
	v_mbcnt_hi_u32_b32 v10, -1, v4
	v_and_b32_e32 v11, 63, v10
	v_cmp_gt_u32_e32 vcc, 48, v11
	s_barrier
	s_nop 0
	v_cndmask_b32_e64 v4, 0, 16, vcc
	v_add_lshl_u32 v7, v4, v10, 2
	ds_bpermute_b32 v4, v7, v2
	ds_bpermute_b32 v5, v7, v3
	;; [unrolled: 1-line block ×4, first 2 shown]
	v_cmp_gt_u32_e32 vcc, 56, v11
	s_waitcnt lgkmcnt(0)
	v_add_f64 v[2:3], v[2:3], v[4:5]
	v_cndmask_b32_e64 v4, 0, 8, vcc
	v_add_f64 v[0:1], v[0:1], v[6:7]
	v_add_lshl_u32 v7, v4, v10, 2
	ds_bpermute_b32 v4, v7, v2
	ds_bpermute_b32 v5, v7, v3
	;; [unrolled: 1-line block ×4, first 2 shown]
	v_cmp_gt_u32_e32 vcc, 60, v11
	s_waitcnt lgkmcnt(2)
	v_add_f64 v[2:3], v[2:3], v[4:5]
	v_cndmask_b32_e64 v4, 0, 4, vcc
	s_waitcnt lgkmcnt(0)
	v_add_f64 v[0:1], v[0:1], v[6:7]
	v_add_lshl_u32 v7, v4, v10, 2
	ds_bpermute_b32 v4, v7, v2
	ds_bpermute_b32 v5, v7, v3
	ds_bpermute_b32 v6, v7, v0
	ds_bpermute_b32 v7, v7, v1
	v_cmp_gt_u32_e32 vcc, 62, v11
	s_waitcnt lgkmcnt(2)
	v_add_f64 v[2:3], v[2:3], v[4:5]
	v_cndmask_b32_e64 v4, 0, 2, vcc
	s_waitcnt lgkmcnt(0)
	v_add_f64 v[0:1], v[0:1], v[6:7]
	v_add_lshl_u32 v7, v4, v10, 2
	ds_bpermute_b32 v4, v7, v2
	ds_bpermute_b32 v5, v7, v3
	;; [unrolled: 1-line block ×4, first 2 shown]
	v_cmp_ne_u32_e32 vcc, 63, v11
	s_waitcnt lgkmcnt(2)
	v_add_f64 v[2:3], v[2:3], v[4:5]
	v_addc_co_u32_e32 v4, vcc, 0, v10, vcc
	s_waitcnt lgkmcnt(0)
	v_add_f64 v[0:1], v[0:1], v[6:7]
	v_lshlrev_b32_e32 v7, 2, v4
	ds_bpermute_b32 v4, v7, v2
	ds_bpermute_b32 v5, v7, v3
	;; [unrolled: 1-line block ×4, first 2 shown]
	s_waitcnt lgkmcnt(2)
	v_add_f64 v[10:11], v[2:3], v[4:5]
	s_waitcnt lgkmcnt(0)
	v_add_f64 v[0:1], v[0:1], v[6:7]
	v_mul_f64 v[2:3], s[18:19], v[0:1]
	v_mul_f64 v[4:5], s[16:17], v[0:1]
	v_fma_f64 v[2:3], s[16:17], v[10:11], -v[2:3]
	v_fmac_f64_e32 v[4:5], s[18:19], v[10:11]
.LBB8_28:
	v_cmp_eq_u32_e32 vcc, 0, v9
	s_and_b64 exec, exec, vcc
	s_cbranch_execz .LBB8_32
; %bb.29:
	s_lshl_b64 s[2:3], s[10:11], 4
	s_waitcnt lgkmcnt(0)
	s_add_u32 s0, s0, s2
	v_ashrrev_i32_e32 v0, 31, v8
	s_addc_u32 s1, s1, s3
	v_cmp_neq_f64_e64 s[2:3], s[12:13], 0
	v_cmp_neq_f64_e64 s[4:5], s[14:15], 0
	v_mul_lo_u32 v6, s25, v8
	v_mul_lo_u32 v7, s24, v0
	v_mad_u64_u32 v[0:1], s[6:7], s24, v8, 0
	v_add3_u32 v1, v1, v7, v6
	s_or_b64 s[2:3], s[2:3], s[4:5]
	s_andn2_b64 vcc, exec, s[2:3]
	v_lshl_add_u64 v[0:1], v[0:1], 4, s[0:1]
	s_cbranch_vccnz .LBB8_31
; %bb.30:
	flat_load_dwordx4 v[6:9], v[0:1]
	s_waitcnt vmcnt(0) lgkmcnt(0)
	v_mul_f64 v[10:11], s[14:15], v[8:9]
	v_mul_f64 v[8:9], s[12:13], v[8:9]
	v_fma_f64 v[10:11], s[12:13], v[6:7], -v[10:11]
	v_fmac_f64_e32 v[8:9], s[14:15], v[6:7]
	v_add_f64 v[2:3], v[2:3], v[10:11]
	v_add_f64 v[4:5], v[4:5], v[8:9]
.LBB8_31:
	flat_store_dwordx4 v[0:1], v[2:5]
.LBB8_32:
	s_endpgm
	.section	.rodata,"a",@progbits
	.p2align	6, 0x0
	.amdhsa_kernel _ZL20rocblas_gbmvn_kernelILi32ELi32E24rocblas_internal_val_ptrI19rocblas_complex_numIdEEPKPKS2_PKPS2_EvbiiiiT1_T2_lllSC_lllSB_T3_llli
		.amdhsa_group_segment_fixed_size 0
		.amdhsa_private_segment_fixed_size 0
		.amdhsa_kernarg_size 156
		.amdhsa_user_sgpr_count 2
		.amdhsa_user_sgpr_dispatch_ptr 0
		.amdhsa_user_sgpr_queue_ptr 0
		.amdhsa_user_sgpr_kernarg_segment_ptr 1
		.amdhsa_user_sgpr_dispatch_id 0
		.amdhsa_user_sgpr_kernarg_preload_length 0
		.amdhsa_user_sgpr_kernarg_preload_offset 0
		.amdhsa_user_sgpr_private_segment_size 0
		.amdhsa_uses_dynamic_stack 0
		.amdhsa_enable_private_segment 0
		.amdhsa_system_sgpr_workgroup_id_x 1
		.amdhsa_system_sgpr_workgroup_id_y 0
		.amdhsa_system_sgpr_workgroup_id_z 1
		.amdhsa_system_sgpr_workgroup_info 0
		.amdhsa_system_vgpr_workitem_id 1
		.amdhsa_next_free_vgpr 22
		.amdhsa_next_free_sgpr 42
		.amdhsa_accum_offset 24
		.amdhsa_reserve_vcc 1
		.amdhsa_float_round_mode_32 0
		.amdhsa_float_round_mode_16_64 0
		.amdhsa_float_denorm_mode_32 3
		.amdhsa_float_denorm_mode_16_64 3
		.amdhsa_dx10_clamp 1
		.amdhsa_ieee_mode 1
		.amdhsa_fp16_overflow 0
		.amdhsa_tg_split 0
		.amdhsa_exception_fp_ieee_invalid_op 0
		.amdhsa_exception_fp_denorm_src 0
		.amdhsa_exception_fp_ieee_div_zero 0
		.amdhsa_exception_fp_ieee_overflow 0
		.amdhsa_exception_fp_ieee_underflow 0
		.amdhsa_exception_fp_ieee_inexact 0
		.amdhsa_exception_int_div_zero 0
	.end_amdhsa_kernel
	.section	.text._ZL20rocblas_gbmvn_kernelILi32ELi32E24rocblas_internal_val_ptrI19rocblas_complex_numIdEEPKPKS2_PKPS2_EvbiiiiT1_T2_lllSC_lllSB_T3_llli,"axG",@progbits,_ZL20rocblas_gbmvn_kernelILi32ELi32E24rocblas_internal_val_ptrI19rocblas_complex_numIdEEPKPKS2_PKPS2_EvbiiiiT1_T2_lllSC_lllSB_T3_llli,comdat
.Lfunc_end8:
	.size	_ZL20rocblas_gbmvn_kernelILi32ELi32E24rocblas_internal_val_ptrI19rocblas_complex_numIdEEPKPKS2_PKPS2_EvbiiiiT1_T2_lllSC_lllSB_T3_llli, .Lfunc_end8-_ZL20rocblas_gbmvn_kernelILi32ELi32E24rocblas_internal_val_ptrI19rocblas_complex_numIdEEPKPKS2_PKPS2_EvbiiiiT1_T2_lllSC_lllSB_T3_llli
                                        ; -- End function
	.set _ZL20rocblas_gbmvn_kernelILi32ELi32E24rocblas_internal_val_ptrI19rocblas_complex_numIdEEPKPKS2_PKPS2_EvbiiiiT1_T2_lllSC_lllSB_T3_llli.num_vgpr, 22
	.set _ZL20rocblas_gbmvn_kernelILi32ELi32E24rocblas_internal_val_ptrI19rocblas_complex_numIdEEPKPKS2_PKPS2_EvbiiiiT1_T2_lllSC_lllSB_T3_llli.num_agpr, 0
	.set _ZL20rocblas_gbmvn_kernelILi32ELi32E24rocblas_internal_val_ptrI19rocblas_complex_numIdEEPKPKS2_PKPS2_EvbiiiiT1_T2_lllSC_lllSB_T3_llli.numbered_sgpr, 42
	.set _ZL20rocblas_gbmvn_kernelILi32ELi32E24rocblas_internal_val_ptrI19rocblas_complex_numIdEEPKPKS2_PKPS2_EvbiiiiT1_T2_lllSC_lllSB_T3_llli.num_named_barrier, 0
	.set _ZL20rocblas_gbmvn_kernelILi32ELi32E24rocblas_internal_val_ptrI19rocblas_complex_numIdEEPKPKS2_PKPS2_EvbiiiiT1_T2_lllSC_lllSB_T3_llli.private_seg_size, 0
	.set _ZL20rocblas_gbmvn_kernelILi32ELi32E24rocblas_internal_val_ptrI19rocblas_complex_numIdEEPKPKS2_PKPS2_EvbiiiiT1_T2_lllSC_lllSB_T3_llli.uses_vcc, 1
	.set _ZL20rocblas_gbmvn_kernelILi32ELi32E24rocblas_internal_val_ptrI19rocblas_complex_numIdEEPKPKS2_PKPS2_EvbiiiiT1_T2_lllSC_lllSB_T3_llli.uses_flat_scratch, 0
	.set _ZL20rocblas_gbmvn_kernelILi32ELi32E24rocblas_internal_val_ptrI19rocblas_complex_numIdEEPKPKS2_PKPS2_EvbiiiiT1_T2_lllSC_lllSB_T3_llli.has_dyn_sized_stack, 0
	.set _ZL20rocblas_gbmvn_kernelILi32ELi32E24rocblas_internal_val_ptrI19rocblas_complex_numIdEEPKPKS2_PKPS2_EvbiiiiT1_T2_lllSC_lllSB_T3_llli.has_recursion, 0
	.set _ZL20rocblas_gbmvn_kernelILi32ELi32E24rocblas_internal_val_ptrI19rocblas_complex_numIdEEPKPKS2_PKPS2_EvbiiiiT1_T2_lllSC_lllSB_T3_llli.has_indirect_call, 0
	.section	.AMDGPU.csdata,"",@progbits
; Kernel info:
; codeLenInByte = 1420
; TotalNumSgprs: 48
; NumVgprs: 22
; NumAgprs: 0
; TotalNumVgprs: 22
; ScratchSize: 0
; MemoryBound: 1
; FloatMode: 240
; IeeeMode: 1
; LDSByteSize: 0 bytes/workgroup (compile time only)
; SGPRBlocks: 5
; VGPRBlocks: 2
; NumSGPRsForWavesPerEU: 48
; NumVGPRsForWavesPerEU: 22
; AccumOffset: 24
; Occupancy: 8
; WaveLimiterHint : 1
; COMPUTE_PGM_RSRC2:SCRATCH_EN: 0
; COMPUTE_PGM_RSRC2:USER_SGPR: 2
; COMPUTE_PGM_RSRC2:TRAP_HANDLER: 0
; COMPUTE_PGM_RSRC2:TGID_X_EN: 1
; COMPUTE_PGM_RSRC2:TGID_Y_EN: 0
; COMPUTE_PGM_RSRC2:TGID_Z_EN: 1
; COMPUTE_PGM_RSRC2:TIDIG_COMP_CNT: 1
; COMPUTE_PGM_RSRC3_GFX90A:ACCUM_OFFSET: 5
; COMPUTE_PGM_RSRC3_GFX90A:TG_SPLIT: 0
	.section	.text._ZL20rocblas_gbmvn_kernelILi64ELi16E24rocblas_internal_val_ptrI19rocblas_complex_numIdEEPKPKS2_PKPS2_EvbiiiiT1_T2_lllSC_lllSB_T3_llli,"axG",@progbits,_ZL20rocblas_gbmvn_kernelILi64ELi16E24rocblas_internal_val_ptrI19rocblas_complex_numIdEEPKPKS2_PKPS2_EvbiiiiT1_T2_lllSC_lllSB_T3_llli,comdat
	.globl	_ZL20rocblas_gbmvn_kernelILi64ELi16E24rocblas_internal_val_ptrI19rocblas_complex_numIdEEPKPKS2_PKPS2_EvbiiiiT1_T2_lllSC_lllSB_T3_llli ; -- Begin function _ZL20rocblas_gbmvn_kernelILi64ELi16E24rocblas_internal_val_ptrI19rocblas_complex_numIdEEPKPKS2_PKPS2_EvbiiiiT1_T2_lllSC_lllSB_T3_llli
	.p2align	8
	.type	_ZL20rocblas_gbmvn_kernelILi64ELi16E24rocblas_internal_val_ptrI19rocblas_complex_numIdEEPKPKS2_PKPS2_EvbiiiiT1_T2_lllSC_lllSB_T3_llli,@function
_ZL20rocblas_gbmvn_kernelILi64ELi16E24rocblas_internal_val_ptrI19rocblas_complex_numIdEEPKPKS2_PKPS2_EvbiiiiT1_T2_lllSC_lllSB_T3_llli: ; @_ZL20rocblas_gbmvn_kernelILi64ELi16E24rocblas_internal_val_ptrI19rocblas_complex_numIdEEPKPKS2_PKPS2_EvbiiiiT1_T2_lllSC_lllSB_T3_llli
; %bb.0:
	s_load_dwordx4 s[20:23], s[0:1], 0x0
	s_load_dwordx2 s[14:15], s[0:1], 0x18
	s_load_dwordx2 s[24:25], s[0:1], 0x88
	s_load_dwordx8 s[4:11], s[0:1], 0x68
	s_mov_b32 s30, s3
	s_mov_b64 s[26:27], -1
	s_waitcnt lgkmcnt(0)
	s_bitcmp1_b32 s20, 0
	s_cselect_b64 s[12:13], -1, 0
	s_xor_b64 s[12:13], s[12:13], -1
	s_and_b64 vcc, exec, s[12:13]
                                        ; implicit-def: $sgpr18_sgpr19
	s_cbranch_vccnz .LBB9_4
; %bb.1:
	s_andn2_b64 vcc, exec, s[26:27]
	s_cbranch_vccz .LBB9_5
.LBB9_2:
	s_and_b64 vcc, exec, s[12:13]
	s_cbranch_vccz .LBB9_6
.LBB9_3:
	s_load_dwordx4 s[12:15], s[4:5], 0x0
	s_cbranch_execz .LBB9_7
	s_branch .LBB9_8
.LBB9_4:
	s_load_dwordx4 s[16:19], s[14:15], 0x0
	s_cbranch_execnz .LBB9_2
.LBB9_5:
	s_waitcnt lgkmcnt(0)
	s_load_dwordx2 s[18:19], s[0:1], 0x20
	s_mov_b64 s[16:17], s[14:15]
	s_and_b64 vcc, exec, s[12:13]
	s_cbranch_vccnz .LBB9_3
.LBB9_6:
                                        ; implicit-def: $sgpr14_sgpr15
.LBB9_7:
	s_waitcnt lgkmcnt(0)
	s_mov_b64 s[12:13], s[4:5]
	s_mov_b64 s[14:15], s[6:7]
.LBB9_8:
	s_load_dwordx4 s[4:7], s[0:1], 0x28
	s_load_dwordx2 s[26:27], s[0:1], 0x38
	s_waitcnt lgkmcnt(0)
	v_cmp_neq_f64_e64 s[34:35], s[16:17], 0
	v_cmp_neq_f64_e64 s[36:37], s[18:19], 0
	s_or_b64 s[34:35], s[34:35], s[36:37]
	s_mov_b32 s31, 0
	s_mov_b64 s[28:29], 0
	s_mov_b64 s[36:37], -1
	s_and_b64 vcc, exec, s[34:35]
	s_mov_b64 s[38:39], s[30:31]
	s_mov_b64 s[40:41], 0
	s_cbranch_vccnz .LBB9_11
; %bb.9:
	v_cmp_eq_f64_e64 s[38:39], s[12:13], 1.0
	v_cmp_eq_f64_e64 s[40:41], s[14:15], 0
	s_and_b64 s[38:39], s[38:39], s[40:41]
	s_mov_b64 s[36:37], 0
	s_andn2_b64 vcc, exec, s[38:39]
	s_mov_b64 s[40:41], 0
                                        ; implicit-def: $sgpr38_sgpr39
	s_cbranch_vccz .LBB9_11
; %bb.10:
	s_mov_b32 s39, 0
	s_mov_b32 s38, s30
	s_mov_b64 s[40:41], -1
.LBB9_11:
	s_and_b64 vcc, exec, s[36:37]
	s_cbranch_vccz .LBB9_13
; %bb.12:
	s_lshl_b64 s[28:29], s[30:31], 3
	s_add_u32 s4, s4, s28
	s_addc_u32 s5, s5, s29
	s_load_dwordx2 s[4:5], s[4:5], 0x0
	s_lshl_b64 s[6:7], s[6:7], 4
	s_mov_b64 s[40:41], -1
	s_waitcnt lgkmcnt(0)
	s_add_u32 s28, s4, s6
	s_addc_u32 s29, s5, s7
.LBB9_13:
	s_andn2_b64 vcc, exec, s[40:41]
	s_cbranch_vccnz .LBB9_32
; %bb.14:
	s_load_dword s20, s[0:1], 0x10
	s_load_dwordx4 s[4:7], s[0:1], 0x48
	s_load_dwordx2 s[30:31], s[0:1], 0x58
	s_andn2_b64 vcc, exec, s[34:35]
	s_mov_b64 s[36:37], 0
	s_cbranch_vccnz .LBB9_16
; %bb.15:
	s_lshl_b64 s[0:1], s[38:39], 3
	s_waitcnt lgkmcnt(0)
	s_add_u32 s0, s4, s0
	s_addc_u32 s1, s5, s1
	s_load_dwordx2 s[0:1], s[0:1], 0x0
	s_lshl_b64 s[4:5], s[6:7], 4
	s_waitcnt lgkmcnt(0)
	s_add_u32 s36, s0, s4
	s_addc_u32 s37, s1, s5
.LBB9_16:
	v_bfe_u32 v1, v0, 10, 10
	v_lshl_add_u32 v8, s2, 4, v1
	v_cmp_gt_i32_e32 vcc, s21, v8
	s_and_saveexec_b64 s[0:1], vcc
	s_cbranch_execz .LBB9_32
; %bb.17:
	s_xor_b64 s[2:3], s[34:35], -1
	s_lshl_b64 s[0:1], s[38:39], 3
	s_add_u32 s0, s8, s0
	s_addc_u32 s1, s9, s1
	s_andn2_b64 vcc, exec, s[2:3]
	s_cbranch_vccnz .LBB9_19
; %bb.18:
	s_mov_b64 s[2:3], 0
	v_and_b32_e32 v9, 0x3ff, v0
	s_branch .LBB9_20
.LBB9_19:
	s_mov_b64 s[2:3], -1
                                        ; implicit-def: $vgpr9
.LBB9_20:
	s_load_dwordx2 s[0:1], s[0:1], 0x0
	v_mov_b64_e32 v[4:5], 0
	s_andn2_b64 vcc, exec, s[2:3]
	v_mov_b64_e32 v[2:3], 0
	s_cbranch_vccnz .LBB9_28
; %bb.21:
	v_and_b32_e32 v9, 0x3ff, v0
	v_min_i32_e32 v6, s23, v8
	s_waitcnt lgkmcnt(0)
	v_sub_u32_e32 v0, s20, v9
	v_add_u32_e32 v4, v0, v6
	v_cmp_lt_i32_e32 vcc, -1, v4
	v_mov_b64_e32 v[0:1], 0
	v_mov_b64_e32 v[2:3], 0
	s_and_saveexec_b64 s[2:3], vcc
	s_cbranch_execz .LBB9_27
; %bb.22:
	v_subrev_u32_e32 v0, s23, v8
	v_max_i32_e32 v0, 0, v0
	v_add_u32_e32 v10, v0, v9
	v_ashrrev_i32_e32 v7, 31, v10
	v_mul_lo_u32 v2, s26, v7
	v_mul_lo_u32 v3, s27, v10
	v_mad_u64_u32 v[0:1], s[4:5], s26, v10, 0
	v_mov_b32_e32 v5, 0
	v_add3_u32 v1, v1, v2, v3
	v_lshlrev_b64 v[2:3], 4, v[4:5]
	v_lshl_add_u64 v[0:1], v[0:1], 4, v[2:3]
	v_lshl_add_u64 v[4:5], s[28:29], 0, v[0:1]
	v_add_u32_e32 v0, s20, v6
	v_sub_u32_e32 v0, v0, v9
	s_lshl_b64 s[4:5], s[26:27], 10
	v_add_u32_e32 v11, 64, v0
	v_mul_lo_u32 v2, s30, v7
	v_mul_lo_u32 v3, s31, v10
	v_mad_u64_u32 v[0:1], s[6:7], s30, v10, 0
	s_add_u32 s4, s4, 0xfffffc00
	v_add3_u32 v1, v1, v2, v3
	s_addc_u32 s5, s5, -1
	v_lshl_add_u64 v[6:7], v[0:1], 4, s[36:37]
	s_lshl_b64 s[6:7], s[30:31], 10
	v_mov_b64_e32 v[0:1], 0
	s_mov_b64 s[8:9], 0
	v_mov_b64_e32 v[2:3], 0
	s_branch .LBB9_24
.LBB9_23:                               ;   in Loop: Header=BB9_24 Depth=1
	s_or_b64 exec, exec, s[20:21]
	v_subrev_u32_e32 v11, 64, v11
	v_cmp_gt_u32_e32 vcc, 64, v11
	v_add_u32_e32 v10, 64, v10
	v_lshl_add_u64 v[4:5], v[4:5], 0, s[4:5]
	s_or_b64 s[8:9], vcc, s[8:9]
	v_lshl_add_u64 v[6:7], v[6:7], 0, s[6:7]
	s_andn2_b64 exec, exec, s[8:9]
	s_cbranch_execz .LBB9_26
.LBB9_24:                               ; =>This Inner Loop Header: Depth=1
	v_cmp_gt_i32_e32 vcc, s22, v10
	s_and_saveexec_b64 s[20:21], vcc
	s_cbranch_execz .LBB9_23
; %bb.25:                               ;   in Loop: Header=BB9_24 Depth=1
	flat_load_dwordx4 v[12:15], v[6:7]
	flat_load_dwordx4 v[16:19], v[4:5]
	s_waitcnt vmcnt(0) lgkmcnt(0)
	v_mul_f64 v[20:21], v[14:15], v[18:19]
	v_mul_f64 v[18:19], v[12:13], v[18:19]
	v_fma_f64 v[12:13], v[12:13], v[16:17], -v[20:21]
	v_fmac_f64_e32 v[18:19], v[14:15], v[16:17]
	v_add_f64 v[2:3], v[2:3], v[12:13]
	v_add_f64 v[0:1], v[0:1], v[18:19]
	s_branch .LBB9_23
.LBB9_26:
	s_or_b64 exec, exec, s[8:9]
.LBB9_27:
	s_or_b64 exec, exec, s[2:3]
	v_mbcnt_lo_u32_b32 v4, -1, 0
	v_mbcnt_hi_u32_b32 v10, -1, v4
	v_mov_b32_e32 v4, 0x80
	v_lshl_or_b32 v7, v10, 2, v4
	ds_bpermute_b32 v4, v7, v2
	ds_bpermute_b32 v5, v7, v3
	;; [unrolled: 1-line block ×4, first 2 shown]
	v_and_b32_e32 v11, 63, v10
	v_cmp_gt_u32_e32 vcc, 48, v11
	s_waitcnt lgkmcnt(2)
	v_add_f64 v[2:3], v[2:3], v[4:5]
	s_waitcnt lgkmcnt(0)
	v_cndmask_b32_e64 v4, 0, 16, vcc
	v_add_f64 v[0:1], v[0:1], v[6:7]
	v_add_lshl_u32 v7, v4, v10, 2
	ds_bpermute_b32 v4, v7, v2
	ds_bpermute_b32 v5, v7, v3
	;; [unrolled: 1-line block ×4, first 2 shown]
	v_cmp_gt_u32_e32 vcc, 56, v11
	s_barrier
	s_waitcnt lgkmcnt(2)
	v_add_f64 v[2:3], v[2:3], v[4:5]
	v_cndmask_b32_e64 v4, 0, 8, vcc
	s_waitcnt lgkmcnt(0)
	v_add_f64 v[0:1], v[0:1], v[6:7]
	v_add_lshl_u32 v7, v4, v10, 2
	ds_bpermute_b32 v4, v7, v2
	ds_bpermute_b32 v5, v7, v3
	ds_bpermute_b32 v6, v7, v0
	ds_bpermute_b32 v7, v7, v1
	v_cmp_gt_u32_e32 vcc, 60, v11
	s_waitcnt lgkmcnt(0)
	v_add_f64 v[2:3], v[2:3], v[4:5]
	v_cndmask_b32_e64 v4, 0, 4, vcc
	v_add_f64 v[0:1], v[0:1], v[6:7]
	v_add_lshl_u32 v7, v4, v10, 2
	ds_bpermute_b32 v4, v7, v2
	ds_bpermute_b32 v5, v7, v3
	ds_bpermute_b32 v6, v7, v0
	ds_bpermute_b32 v7, v7, v1
	v_cmp_gt_u32_e32 vcc, 62, v11
	s_waitcnt lgkmcnt(2)
	v_add_f64 v[2:3], v[2:3], v[4:5]
	v_cndmask_b32_e64 v4, 0, 2, vcc
	s_waitcnt lgkmcnt(0)
	v_add_f64 v[0:1], v[0:1], v[6:7]
	v_add_lshl_u32 v7, v4, v10, 2
	ds_bpermute_b32 v4, v7, v2
	ds_bpermute_b32 v5, v7, v3
	;; [unrolled: 1-line block ×4, first 2 shown]
	v_cmp_ne_u32_e32 vcc, 63, v11
	s_waitcnt lgkmcnt(2)
	v_add_f64 v[2:3], v[2:3], v[4:5]
	v_addc_co_u32_e32 v4, vcc, 0, v10, vcc
	s_waitcnt lgkmcnt(0)
	v_add_f64 v[0:1], v[0:1], v[6:7]
	v_lshlrev_b32_e32 v7, 2, v4
	ds_bpermute_b32 v4, v7, v2
	ds_bpermute_b32 v5, v7, v3
	;; [unrolled: 1-line block ×4, first 2 shown]
	s_waitcnt lgkmcnt(2)
	v_add_f64 v[10:11], v[2:3], v[4:5]
	s_waitcnt lgkmcnt(0)
	v_add_f64 v[0:1], v[0:1], v[6:7]
	v_mul_f64 v[2:3], s[18:19], v[0:1]
	v_mul_f64 v[4:5], s[16:17], v[0:1]
	v_fma_f64 v[2:3], s[16:17], v[10:11], -v[2:3]
	v_fmac_f64_e32 v[4:5], s[18:19], v[10:11]
.LBB9_28:
	v_cmp_eq_u32_e32 vcc, 0, v9
	s_and_b64 exec, exec, vcc
	s_cbranch_execz .LBB9_32
; %bb.29:
	s_lshl_b64 s[2:3], s[10:11], 4
	s_waitcnt lgkmcnt(0)
	s_add_u32 s0, s0, s2
	v_ashrrev_i32_e32 v0, 31, v8
	s_addc_u32 s1, s1, s3
	v_cmp_neq_f64_e64 s[2:3], s[12:13], 0
	v_cmp_neq_f64_e64 s[4:5], s[14:15], 0
	v_mul_lo_u32 v6, s25, v8
	v_mul_lo_u32 v7, s24, v0
	v_mad_u64_u32 v[0:1], s[6:7], s24, v8, 0
	v_add3_u32 v1, v1, v7, v6
	s_or_b64 s[2:3], s[2:3], s[4:5]
	s_andn2_b64 vcc, exec, s[2:3]
	v_lshl_add_u64 v[0:1], v[0:1], 4, s[0:1]
	s_cbranch_vccnz .LBB9_31
; %bb.30:
	flat_load_dwordx4 v[6:9], v[0:1]
	s_waitcnt vmcnt(0) lgkmcnt(0)
	v_mul_f64 v[10:11], s[14:15], v[8:9]
	v_mul_f64 v[8:9], s[12:13], v[8:9]
	v_fma_f64 v[10:11], s[12:13], v[6:7], -v[10:11]
	v_fmac_f64_e32 v[8:9], s[14:15], v[6:7]
	v_add_f64 v[2:3], v[2:3], v[10:11]
	v_add_f64 v[4:5], v[4:5], v[8:9]
.LBB9_31:
	flat_store_dwordx4 v[0:1], v[2:5]
.LBB9_32:
	s_endpgm
	.section	.rodata,"a",@progbits
	.p2align	6, 0x0
	.amdhsa_kernel _ZL20rocblas_gbmvn_kernelILi64ELi16E24rocblas_internal_val_ptrI19rocblas_complex_numIdEEPKPKS2_PKPS2_EvbiiiiT1_T2_lllSC_lllSB_T3_llli
		.amdhsa_group_segment_fixed_size 0
		.amdhsa_private_segment_fixed_size 0
		.amdhsa_kernarg_size 156
		.amdhsa_user_sgpr_count 2
		.amdhsa_user_sgpr_dispatch_ptr 0
		.amdhsa_user_sgpr_queue_ptr 0
		.amdhsa_user_sgpr_kernarg_segment_ptr 1
		.amdhsa_user_sgpr_dispatch_id 0
		.amdhsa_user_sgpr_kernarg_preload_length 0
		.amdhsa_user_sgpr_kernarg_preload_offset 0
		.amdhsa_user_sgpr_private_segment_size 0
		.amdhsa_uses_dynamic_stack 0
		.amdhsa_enable_private_segment 0
		.amdhsa_system_sgpr_workgroup_id_x 1
		.amdhsa_system_sgpr_workgroup_id_y 0
		.amdhsa_system_sgpr_workgroup_id_z 1
		.amdhsa_system_sgpr_workgroup_info 0
		.amdhsa_system_vgpr_workitem_id 1
		.amdhsa_next_free_vgpr 22
		.amdhsa_next_free_sgpr 42
		.amdhsa_accum_offset 24
		.amdhsa_reserve_vcc 1
		.amdhsa_float_round_mode_32 0
		.amdhsa_float_round_mode_16_64 0
		.amdhsa_float_denorm_mode_32 3
		.amdhsa_float_denorm_mode_16_64 3
		.amdhsa_dx10_clamp 1
		.amdhsa_ieee_mode 1
		.amdhsa_fp16_overflow 0
		.amdhsa_tg_split 0
		.amdhsa_exception_fp_ieee_invalid_op 0
		.amdhsa_exception_fp_denorm_src 0
		.amdhsa_exception_fp_ieee_div_zero 0
		.amdhsa_exception_fp_ieee_overflow 0
		.amdhsa_exception_fp_ieee_underflow 0
		.amdhsa_exception_fp_ieee_inexact 0
		.amdhsa_exception_int_div_zero 0
	.end_amdhsa_kernel
	.section	.text._ZL20rocblas_gbmvn_kernelILi64ELi16E24rocblas_internal_val_ptrI19rocblas_complex_numIdEEPKPKS2_PKPS2_EvbiiiiT1_T2_lllSC_lllSB_T3_llli,"axG",@progbits,_ZL20rocblas_gbmvn_kernelILi64ELi16E24rocblas_internal_val_ptrI19rocblas_complex_numIdEEPKPKS2_PKPS2_EvbiiiiT1_T2_lllSC_lllSB_T3_llli,comdat
.Lfunc_end9:
	.size	_ZL20rocblas_gbmvn_kernelILi64ELi16E24rocblas_internal_val_ptrI19rocblas_complex_numIdEEPKPKS2_PKPS2_EvbiiiiT1_T2_lllSC_lllSB_T3_llli, .Lfunc_end9-_ZL20rocblas_gbmvn_kernelILi64ELi16E24rocblas_internal_val_ptrI19rocblas_complex_numIdEEPKPKS2_PKPS2_EvbiiiiT1_T2_lllSC_lllSB_T3_llli
                                        ; -- End function
	.set _ZL20rocblas_gbmvn_kernelILi64ELi16E24rocblas_internal_val_ptrI19rocblas_complex_numIdEEPKPKS2_PKPS2_EvbiiiiT1_T2_lllSC_lllSB_T3_llli.num_vgpr, 22
	.set _ZL20rocblas_gbmvn_kernelILi64ELi16E24rocblas_internal_val_ptrI19rocblas_complex_numIdEEPKPKS2_PKPS2_EvbiiiiT1_T2_lllSC_lllSB_T3_llli.num_agpr, 0
	.set _ZL20rocblas_gbmvn_kernelILi64ELi16E24rocblas_internal_val_ptrI19rocblas_complex_numIdEEPKPKS2_PKPS2_EvbiiiiT1_T2_lllSC_lllSB_T3_llli.numbered_sgpr, 42
	.set _ZL20rocblas_gbmvn_kernelILi64ELi16E24rocblas_internal_val_ptrI19rocblas_complex_numIdEEPKPKS2_PKPS2_EvbiiiiT1_T2_lllSC_lllSB_T3_llli.num_named_barrier, 0
	.set _ZL20rocblas_gbmvn_kernelILi64ELi16E24rocblas_internal_val_ptrI19rocblas_complex_numIdEEPKPKS2_PKPS2_EvbiiiiT1_T2_lllSC_lllSB_T3_llli.private_seg_size, 0
	.set _ZL20rocblas_gbmvn_kernelILi64ELi16E24rocblas_internal_val_ptrI19rocblas_complex_numIdEEPKPKS2_PKPS2_EvbiiiiT1_T2_lllSC_lllSB_T3_llli.uses_vcc, 1
	.set _ZL20rocblas_gbmvn_kernelILi64ELi16E24rocblas_internal_val_ptrI19rocblas_complex_numIdEEPKPKS2_PKPS2_EvbiiiiT1_T2_lllSC_lllSB_T3_llli.uses_flat_scratch, 0
	.set _ZL20rocblas_gbmvn_kernelILi64ELi16E24rocblas_internal_val_ptrI19rocblas_complex_numIdEEPKPKS2_PKPS2_EvbiiiiT1_T2_lllSC_lllSB_T3_llli.has_dyn_sized_stack, 0
	.set _ZL20rocblas_gbmvn_kernelILi64ELi16E24rocblas_internal_val_ptrI19rocblas_complex_numIdEEPKPKS2_PKPS2_EvbiiiiT1_T2_lllSC_lllSB_T3_llli.has_recursion, 0
	.set _ZL20rocblas_gbmvn_kernelILi64ELi16E24rocblas_internal_val_ptrI19rocblas_complex_numIdEEPKPKS2_PKPS2_EvbiiiiT1_T2_lllSC_lllSB_T3_llli.has_indirect_call, 0
	.section	.AMDGPU.csdata,"",@progbits
; Kernel info:
; codeLenInByte = 1488
; TotalNumSgprs: 48
; NumVgprs: 22
; NumAgprs: 0
; TotalNumVgprs: 22
; ScratchSize: 0
; MemoryBound: 1
; FloatMode: 240
; IeeeMode: 1
; LDSByteSize: 0 bytes/workgroup (compile time only)
; SGPRBlocks: 5
; VGPRBlocks: 2
; NumSGPRsForWavesPerEU: 48
; NumVGPRsForWavesPerEU: 22
; AccumOffset: 24
; Occupancy: 8
; WaveLimiterHint : 1
; COMPUTE_PGM_RSRC2:SCRATCH_EN: 0
; COMPUTE_PGM_RSRC2:USER_SGPR: 2
; COMPUTE_PGM_RSRC2:TRAP_HANDLER: 0
; COMPUTE_PGM_RSRC2:TGID_X_EN: 1
; COMPUTE_PGM_RSRC2:TGID_Y_EN: 0
; COMPUTE_PGM_RSRC2:TGID_Z_EN: 1
; COMPUTE_PGM_RSRC2:TIDIG_COMP_CNT: 1
; COMPUTE_PGM_RSRC3_GFX90A:ACCUM_OFFSET: 5
; COMPUTE_PGM_RSRC3_GFX90A:TG_SPLIT: 0
	.section	.text._ZL20rocblas_gbmvt_kernelILi32ELi32E24rocblas_internal_val_ptrI19rocblas_complex_numIdEEPKPKS2_PKPS2_Evb18rocblas_operation_iiiiT1_T2_lllSD_lllSC_T3_llli,"axG",@progbits,_ZL20rocblas_gbmvt_kernelILi32ELi32E24rocblas_internal_val_ptrI19rocblas_complex_numIdEEPKPKS2_PKPS2_Evb18rocblas_operation_iiiiT1_T2_lllSD_lllSC_T3_llli,comdat
	.globl	_ZL20rocblas_gbmvt_kernelILi32ELi32E24rocblas_internal_val_ptrI19rocblas_complex_numIdEEPKPKS2_PKPS2_Evb18rocblas_operation_iiiiT1_T2_lllSD_lllSC_T3_llli ; -- Begin function _ZL20rocblas_gbmvt_kernelILi32ELi32E24rocblas_internal_val_ptrI19rocblas_complex_numIdEEPKPKS2_PKPS2_Evb18rocblas_operation_iiiiT1_T2_lllSD_lllSC_T3_llli
	.p2align	8
	.type	_ZL20rocblas_gbmvt_kernelILi32ELi32E24rocblas_internal_val_ptrI19rocblas_complex_numIdEEPKPKS2_PKPS2_Evb18rocblas_operation_iiiiT1_T2_lllSD_lllSC_T3_llli,@function
_ZL20rocblas_gbmvt_kernelILi32ELi32E24rocblas_internal_val_ptrI19rocblas_complex_numIdEEPKPKS2_PKPS2_Evb18rocblas_operation_iiiiT1_T2_lllSD_lllSC_T3_llli: ; @_ZL20rocblas_gbmvt_kernelILi32ELi32E24rocblas_internal_val_ptrI19rocblas_complex_numIdEEPKPKS2_PKPS2_Evb18rocblas_operation_iiiiT1_T2_lllSD_lllSC_T3_llli
; %bb.0:
	s_load_dwordx4 s[20:23], s[0:1], 0x0
	s_load_dwordx2 s[14:15], s[0:1], 0x18
	s_load_dwordx2 s[24:25], s[0:1], 0x88
	s_load_dwordx8 s[4:11], s[0:1], 0x68
	s_mov_b32 s26, s3
	s_mov_b64 s[28:29], -1
	s_waitcnt lgkmcnt(0)
	s_bitcmp1_b32 s20, 0
	s_cselect_b64 s[12:13], -1, 0
	s_xor_b64 s[12:13], s[12:13], -1
	s_and_b64 vcc, exec, s[12:13]
                                        ; implicit-def: $sgpr18_sgpr19
	s_cbranch_vccnz .LBB10_4
; %bb.1:
	s_andn2_b64 vcc, exec, s[28:29]
	s_cbranch_vccz .LBB10_5
.LBB10_2:
	s_and_b64 vcc, exec, s[12:13]
	s_cbranch_vccz .LBB10_6
.LBB10_3:
	s_load_dwordx4 s[12:15], s[4:5], 0x0
	s_cbranch_execz .LBB10_7
	s_branch .LBB10_8
.LBB10_4:
	s_load_dwordx4 s[16:19], s[14:15], 0x0
	s_cbranch_execnz .LBB10_2
.LBB10_5:
	s_waitcnt lgkmcnt(0)
	s_load_dwordx2 s[18:19], s[0:1], 0x20
	s_mov_b64 s[16:17], s[14:15]
	s_and_b64 vcc, exec, s[12:13]
	s_cbranch_vccnz .LBB10_3
.LBB10_6:
                                        ; implicit-def: $sgpr14_sgpr15
.LBB10_7:
	s_waitcnt lgkmcnt(0)
	s_mov_b64 s[12:13], s[4:5]
	s_mov_b64 s[14:15], s[6:7]
.LBB10_8:
	s_load_dwordx4 s[4:7], s[0:1], 0x28
	s_load_dwordx2 s[28:29], s[0:1], 0x38
	s_waitcnt lgkmcnt(0)
	v_cmp_neq_f64_e64 s[34:35], s[16:17], 0
	v_cmp_neq_f64_e64 s[36:37], s[18:19], 0
	s_or_b64 s[34:35], s[34:35], s[36:37]
	s_mov_b32 s27, 0
	s_mov_b64 s[30:31], 0
	s_mov_b64 s[36:37], -1
	s_and_b64 vcc, exec, s[34:35]
	s_mov_b64 s[38:39], s[26:27]
	s_mov_b64 s[40:41], 0
	s_cbranch_vccnz .LBB10_11
; %bb.9:
	v_cmp_eq_f64_e64 s[38:39], s[12:13], 1.0
	v_cmp_eq_f64_e64 s[40:41], s[14:15], 0
	s_and_b64 s[38:39], s[38:39], s[40:41]
	s_mov_b64 s[36:37], 0
	s_andn2_b64 vcc, exec, s[38:39]
	s_mov_b64 s[40:41], 0
                                        ; implicit-def: $sgpr38_sgpr39
	s_cbranch_vccz .LBB10_11
; %bb.10:
	s_mov_b32 s39, 0
	s_mov_b32 s38, s26
	s_mov_b64 s[40:41], -1
.LBB10_11:
	s_and_b64 vcc, exec, s[36:37]
	s_cbranch_vccz .LBB10_13
; %bb.12:
	s_lshl_b64 s[26:27], s[26:27], 3
	s_add_u32 s4, s4, s26
	s_addc_u32 s5, s5, s27
	s_load_dwordx2 s[4:5], s[4:5], 0x0
	s_lshl_b64 s[6:7], s[6:7], 4
	s_mov_b64 s[40:41], -1
	s_waitcnt lgkmcnt(0)
	s_add_u32 s30, s4, s6
	s_addc_u32 s31, s5, s7
.LBB10_13:
	s_andn2_b64 vcc, exec, s[40:41]
	s_cbranch_vccnz .LBB10_34
; %bb.14:
	s_load_dwordx2 s[26:27], s[0:1], 0x10
	s_load_dwordx4 s[4:7], s[0:1], 0x48
	s_load_dwordx2 s[36:37], s[0:1], 0x58
	s_andn2_b64 vcc, exec, s[34:35]
	s_mov_b64 s[40:41], 0
	s_cbranch_vccnz .LBB10_16
; %bb.15:
	s_lshl_b64 s[0:1], s[38:39], 3
	s_waitcnt lgkmcnt(0)
	s_add_u32 s0, s4, s0
	s_addc_u32 s1, s5, s1
	s_load_dwordx2 s[0:1], s[0:1], 0x0
	s_lshl_b64 s[4:5], s[6:7], 4
	s_waitcnt lgkmcnt(0)
	s_add_u32 s40, s0, s4
	s_addc_u32 s41, s1, s5
.LBB10_16:
	v_bfe_u32 v1, v0, 10, 10
	v_lshl_add_u32 v8, s2, 5, v1
	v_cmp_gt_i32_e32 vcc, s23, v8
	s_and_saveexec_b64 s[0:1], vcc
	s_cbranch_execz .LBB10_34
; %bb.17:
	s_xor_b64 s[2:3], s[34:35], -1
	s_lshl_b64 s[0:1], s[38:39], 3
	s_add_u32 s0, s8, s0
	s_addc_u32 s1, s9, s1
	s_andn2_b64 vcc, exec, s[2:3]
	s_cbranch_vccnz .LBB10_19
; %bb.18:
	s_mov_b64 s[2:3], 0
	v_and_b32_e32 v9, 0x3ff, v0
	s_branch .LBB10_20
.LBB10_19:
	s_mov_b64 s[2:3], -1
                                        ; implicit-def: $vgpr9
.LBB10_20:
	s_waitcnt lgkmcnt(0)
	s_load_dwordx2 s[4:5], s[0:1], 0x0
	v_mov_b64_e32 v[4:5], 0
	s_andn2_b64 vcc, exec, s[2:3]
	v_mov_b64_e32 v[2:3], 0
	s_cbranch_vccnz .LBB10_30
; %bb.21:
	v_and_b32_e32 v9, 0x3ff, v0
	s_add_i32 s23, s27, s26
	v_cmp_ge_i32_e32 vcc, s23, v9
	v_mov_b64_e32 v[0:1], 0
	v_mov_b64_e32 v[2:3], 0
	s_and_saveexec_b64 s[6:7], vcc
	s_cbranch_execz .LBB10_29
; %bb.22:
	v_ashrrev_i32_e32 v6, 31, v8
	v_mul_lo_u32 v2, s29, v8
	v_mul_lo_u32 v3, s28, v6
	v_mad_u64_u32 v[0:1], s[0:1], s28, v8, 0
	v_add3_u32 v1, v1, v3, v2
	v_lshlrev_b32_e32 v2, 4, v9
	v_mov_b32_e32 v3, 0
	v_lshl_add_u64 v[0:1], v[0:1], 4, v[2:3]
	v_sub_u32_e32 v10, s27, v9
	v_lshl_add_u64 v[4:5], s[30:31], 0, v[0:1]
	v_ashrrev_i32_e32 v0, 31, v10
	v_sub_co_u32_e64 v1, s[0:1], v8, v10
	v_mul_lo_u32 v2, s37, v1
	s_nop 0
	v_subb_co_u32_e64 v0, s[0:1], v6, v0, s[0:1]
	v_mul_lo_u32 v3, s36, v0
	v_mad_u64_u32 v[0:1], s[0:1], s36, v1, 0
	s_cmpk_eq_i32 s21, 0x71
	v_add3_u32 v1, v1, v3, v2
	s_cselect_b64 vcc, -1, 0
	v_lshl_add_u64 v[6:7], v[0:1], 4, s[40:41]
	s_lshl_b64 s[8:9], s[36:37], 9
	v_mov_b64_e32 v[0:1], 0
	s_mov_b64 s[20:21], 0
	s_mov_b64 s[28:29], 0x200
	v_mov_b32_e32 v11, v9
	v_mov_b64_e32 v[2:3], 0
	s_branch .LBB10_25
.LBB10_23:                              ;   in Loop: Header=BB10_25 Depth=1
	s_or_b64 exec, exec, s[0:1]
.LBB10_24:                              ;   in Loop: Header=BB10_25 Depth=1
	s_or_b64 exec, exec, s[30:31]
	v_add_u32_e32 v11, 32, v11
	v_cmp_lt_i32_e64 s[0:1], s23, v11
	v_lshl_add_u64 v[4:5], v[4:5], 0, s[28:29]
	v_subrev_u32_e32 v10, 32, v10
	s_or_b64 s[20:21], s[0:1], s[20:21]
	v_lshl_add_u64 v[6:7], v[6:7], 0, s[8:9]
	s_andn2_b64 exec, exec, s[20:21]
	s_cbranch_execz .LBB10_28
.LBB10_25:                              ; =>This Inner Loop Header: Depth=1
	v_add_u32_e32 v12, s22, v10
	v_cmp_lt_i32_e64 s[0:1], v8, v12
	s_and_saveexec_b64 s[30:31], s[0:1]
	s_cbranch_execz .LBB10_24
; %bb.26:                               ;   in Loop: Header=BB10_25 Depth=1
	v_cmp_lt_i32_e64 s[0:1], s27, v11
	v_cmp_ge_i32_e64 s[2:3], v8, v10
	s_or_b64 s[2:3], s[0:1], s[2:3]
	s_and_saveexec_b64 s[0:1], s[2:3]
	s_cbranch_execz .LBB10_23
; %bb.27:                               ;   in Loop: Header=BB10_25 Depth=1
	flat_load_dwordx4 v[12:15], v[4:5]
	flat_load_dwordx4 v[16:19], v[6:7]
	s_waitcnt vmcnt(0) lgkmcnt(0)
	v_xor_b32_e32 v22, 0x80000000, v15
	v_cndmask_b32_e32 v15, v15, v22, vcc
	v_mul_f64 v[20:21], v[12:13], v[18:19]
	v_mul_f64 v[18:19], v[14:15], v[18:19]
	v_fmac_f64_e32 v[20:21], v[14:15], v[16:17]
	v_fma_f64 v[12:13], v[12:13], v[16:17], -v[18:19]
	v_add_f64 v[2:3], v[2:3], v[12:13]
	v_add_f64 v[0:1], v[0:1], v[20:21]
	s_branch .LBB10_23
.LBB10_28:
	s_or_b64 exec, exec, s[20:21]
.LBB10_29:
	s_or_b64 exec, exec, s[6:7]
	v_mbcnt_lo_u32_b32 v4, -1, 0
	v_mbcnt_hi_u32_b32 v10, -1, v4
	v_and_b32_e32 v11, 63, v10
	v_cmp_gt_u32_e32 vcc, 48, v11
	s_waitcnt lgkmcnt(0)
	s_barrier
	v_cndmask_b32_e64 v4, 0, 16, vcc
	v_add_lshl_u32 v7, v4, v10, 2
	ds_bpermute_b32 v4, v7, v2
	ds_bpermute_b32 v5, v7, v3
	;; [unrolled: 1-line block ×4, first 2 shown]
	v_cmp_gt_u32_e32 vcc, 56, v11
	s_waitcnt lgkmcnt(0)
	v_add_f64 v[2:3], v[2:3], v[4:5]
	v_cndmask_b32_e64 v4, 0, 8, vcc
	v_add_f64 v[0:1], v[0:1], v[6:7]
	v_add_lshl_u32 v7, v4, v10, 2
	ds_bpermute_b32 v4, v7, v2
	ds_bpermute_b32 v5, v7, v3
	;; [unrolled: 1-line block ×4, first 2 shown]
	v_cmp_gt_u32_e32 vcc, 60, v11
	s_waitcnt lgkmcnt(2)
	v_add_f64 v[2:3], v[2:3], v[4:5]
	v_cndmask_b32_e64 v4, 0, 4, vcc
	s_waitcnt lgkmcnt(0)
	v_add_f64 v[0:1], v[0:1], v[6:7]
	v_add_lshl_u32 v7, v4, v10, 2
	ds_bpermute_b32 v4, v7, v2
	ds_bpermute_b32 v5, v7, v3
	;; [unrolled: 1-line block ×4, first 2 shown]
	v_cmp_gt_u32_e32 vcc, 62, v11
	s_waitcnt lgkmcnt(2)
	v_add_f64 v[2:3], v[2:3], v[4:5]
	v_cndmask_b32_e64 v4, 0, 2, vcc
	s_waitcnt lgkmcnt(0)
	v_add_f64 v[0:1], v[0:1], v[6:7]
	v_add_lshl_u32 v7, v4, v10, 2
	ds_bpermute_b32 v4, v7, v2
	ds_bpermute_b32 v5, v7, v3
	;; [unrolled: 1-line block ×4, first 2 shown]
	v_cmp_ne_u32_e32 vcc, 63, v11
	s_waitcnt lgkmcnt(2)
	v_add_f64 v[2:3], v[2:3], v[4:5]
	v_addc_co_u32_e32 v4, vcc, 0, v10, vcc
	s_waitcnt lgkmcnt(0)
	v_add_f64 v[0:1], v[0:1], v[6:7]
	v_lshlrev_b32_e32 v7, 2, v4
	ds_bpermute_b32 v4, v7, v2
	ds_bpermute_b32 v5, v7, v3
	;; [unrolled: 1-line block ×4, first 2 shown]
	s_waitcnt lgkmcnt(2)
	v_add_f64 v[10:11], v[2:3], v[4:5]
	s_waitcnt lgkmcnt(0)
	v_add_f64 v[0:1], v[0:1], v[6:7]
	v_mul_f64 v[2:3], s[18:19], v[0:1]
	v_mul_f64 v[4:5], s[16:17], v[0:1]
	v_fma_f64 v[2:3], s[16:17], v[10:11], -v[2:3]
	v_fmac_f64_e32 v[4:5], s[18:19], v[10:11]
.LBB10_30:
	v_cmp_eq_u32_e32 vcc, 0, v9
	s_and_b64 exec, exec, vcc
	s_cbranch_execz .LBB10_34
; %bb.31:
	s_lshl_b64 s[0:1], s[10:11], 4
	s_waitcnt lgkmcnt(0)
	s_add_u32 s0, s4, s0
	v_ashrrev_i32_e32 v0, 31, v8
	s_addc_u32 s1, s5, s1
	v_cmp_neq_f64_e64 s[2:3], s[12:13], 0
	v_cmp_neq_f64_e64 s[4:5], s[14:15], 0
	v_mul_lo_u32 v6, s25, v8
	v_mul_lo_u32 v7, s24, v0
	v_mad_u64_u32 v[0:1], s[6:7], s24, v8, 0
	v_add3_u32 v1, v1, v7, v6
	s_or_b64 s[2:3], s[2:3], s[4:5]
	s_andn2_b64 vcc, exec, s[2:3]
	v_lshl_add_u64 v[0:1], v[0:1], 4, s[0:1]
	s_cbranch_vccnz .LBB10_33
; %bb.32:
	flat_load_dwordx4 v[6:9], v[0:1]
	s_waitcnt vmcnt(0) lgkmcnt(0)
	v_mul_f64 v[10:11], s[14:15], v[8:9]
	v_mul_f64 v[8:9], s[12:13], v[8:9]
	v_fma_f64 v[10:11], s[12:13], v[6:7], -v[10:11]
	v_fmac_f64_e32 v[8:9], s[14:15], v[6:7]
	v_add_f64 v[2:3], v[2:3], v[10:11]
	v_add_f64 v[4:5], v[4:5], v[8:9]
.LBB10_33:
	flat_store_dwordx4 v[0:1], v[2:5]
.LBB10_34:
	s_endpgm
	.section	.rodata,"a",@progbits
	.p2align	6, 0x0
	.amdhsa_kernel _ZL20rocblas_gbmvt_kernelILi32ELi32E24rocblas_internal_val_ptrI19rocblas_complex_numIdEEPKPKS2_PKPS2_Evb18rocblas_operation_iiiiT1_T2_lllSD_lllSC_T3_llli
		.amdhsa_group_segment_fixed_size 0
		.amdhsa_private_segment_fixed_size 0
		.amdhsa_kernarg_size 156
		.amdhsa_user_sgpr_count 2
		.amdhsa_user_sgpr_dispatch_ptr 0
		.amdhsa_user_sgpr_queue_ptr 0
		.amdhsa_user_sgpr_kernarg_segment_ptr 1
		.amdhsa_user_sgpr_dispatch_id 0
		.amdhsa_user_sgpr_kernarg_preload_length 0
		.amdhsa_user_sgpr_kernarg_preload_offset 0
		.amdhsa_user_sgpr_private_segment_size 0
		.amdhsa_uses_dynamic_stack 0
		.amdhsa_enable_private_segment 0
		.amdhsa_system_sgpr_workgroup_id_x 1
		.amdhsa_system_sgpr_workgroup_id_y 0
		.amdhsa_system_sgpr_workgroup_id_z 1
		.amdhsa_system_sgpr_workgroup_info 0
		.amdhsa_system_vgpr_workitem_id 1
		.amdhsa_next_free_vgpr 23
		.amdhsa_next_free_sgpr 42
		.amdhsa_accum_offset 24
		.amdhsa_reserve_vcc 1
		.amdhsa_float_round_mode_32 0
		.amdhsa_float_round_mode_16_64 0
		.amdhsa_float_denorm_mode_32 3
		.amdhsa_float_denorm_mode_16_64 3
		.amdhsa_dx10_clamp 1
		.amdhsa_ieee_mode 1
		.amdhsa_fp16_overflow 0
		.amdhsa_tg_split 0
		.amdhsa_exception_fp_ieee_invalid_op 0
		.amdhsa_exception_fp_denorm_src 0
		.amdhsa_exception_fp_ieee_div_zero 0
		.amdhsa_exception_fp_ieee_overflow 0
		.amdhsa_exception_fp_ieee_underflow 0
		.amdhsa_exception_fp_ieee_inexact 0
		.amdhsa_exception_int_div_zero 0
	.end_amdhsa_kernel
	.section	.text._ZL20rocblas_gbmvt_kernelILi32ELi32E24rocblas_internal_val_ptrI19rocblas_complex_numIdEEPKPKS2_PKPS2_Evb18rocblas_operation_iiiiT1_T2_lllSD_lllSC_T3_llli,"axG",@progbits,_ZL20rocblas_gbmvt_kernelILi32ELi32E24rocblas_internal_val_ptrI19rocblas_complex_numIdEEPKPKS2_PKPS2_Evb18rocblas_operation_iiiiT1_T2_lllSD_lllSC_T3_llli,comdat
.Lfunc_end10:
	.size	_ZL20rocblas_gbmvt_kernelILi32ELi32E24rocblas_internal_val_ptrI19rocblas_complex_numIdEEPKPKS2_PKPS2_Evb18rocblas_operation_iiiiT1_T2_lllSD_lllSC_T3_llli, .Lfunc_end10-_ZL20rocblas_gbmvt_kernelILi32ELi32E24rocblas_internal_val_ptrI19rocblas_complex_numIdEEPKPKS2_PKPS2_Evb18rocblas_operation_iiiiT1_T2_lllSD_lllSC_T3_llli
                                        ; -- End function
	.set _ZL20rocblas_gbmvt_kernelILi32ELi32E24rocblas_internal_val_ptrI19rocblas_complex_numIdEEPKPKS2_PKPS2_Evb18rocblas_operation_iiiiT1_T2_lllSD_lllSC_T3_llli.num_vgpr, 23
	.set _ZL20rocblas_gbmvt_kernelILi32ELi32E24rocblas_internal_val_ptrI19rocblas_complex_numIdEEPKPKS2_PKPS2_Evb18rocblas_operation_iiiiT1_T2_lllSD_lllSC_T3_llli.num_agpr, 0
	.set _ZL20rocblas_gbmvt_kernelILi32ELi32E24rocblas_internal_val_ptrI19rocblas_complex_numIdEEPKPKS2_PKPS2_Evb18rocblas_operation_iiiiT1_T2_lllSD_lllSC_T3_llli.numbered_sgpr, 42
	.set _ZL20rocblas_gbmvt_kernelILi32ELi32E24rocblas_internal_val_ptrI19rocblas_complex_numIdEEPKPKS2_PKPS2_Evb18rocblas_operation_iiiiT1_T2_lllSD_lllSC_T3_llli.num_named_barrier, 0
	.set _ZL20rocblas_gbmvt_kernelILi32ELi32E24rocblas_internal_val_ptrI19rocblas_complex_numIdEEPKPKS2_PKPS2_Evb18rocblas_operation_iiiiT1_T2_lllSD_lllSC_T3_llli.private_seg_size, 0
	.set _ZL20rocblas_gbmvt_kernelILi32ELi32E24rocblas_internal_val_ptrI19rocblas_complex_numIdEEPKPKS2_PKPS2_Evb18rocblas_operation_iiiiT1_T2_lllSD_lllSC_T3_llli.uses_vcc, 1
	.set _ZL20rocblas_gbmvt_kernelILi32ELi32E24rocblas_internal_val_ptrI19rocblas_complex_numIdEEPKPKS2_PKPS2_Evb18rocblas_operation_iiiiT1_T2_lllSD_lllSC_T3_llli.uses_flat_scratch, 0
	.set _ZL20rocblas_gbmvt_kernelILi32ELi32E24rocblas_internal_val_ptrI19rocblas_complex_numIdEEPKPKS2_PKPS2_Evb18rocblas_operation_iiiiT1_T2_lllSD_lllSC_T3_llli.has_dyn_sized_stack, 0
	.set _ZL20rocblas_gbmvt_kernelILi32ELi32E24rocblas_internal_val_ptrI19rocblas_complex_numIdEEPKPKS2_PKPS2_Evb18rocblas_operation_iiiiT1_T2_lllSD_lllSC_T3_llli.has_recursion, 0
	.set _ZL20rocblas_gbmvt_kernelILi32ELi32E24rocblas_internal_val_ptrI19rocblas_complex_numIdEEPKPKS2_PKPS2_Evb18rocblas_operation_iiiiT1_T2_lllSD_lllSC_T3_llli.has_indirect_call, 0
	.section	.AMDGPU.csdata,"",@progbits
; Kernel info:
; codeLenInByte = 1472
; TotalNumSgprs: 48
; NumVgprs: 23
; NumAgprs: 0
; TotalNumVgprs: 23
; ScratchSize: 0
; MemoryBound: 0
; FloatMode: 240
; IeeeMode: 1
; LDSByteSize: 0 bytes/workgroup (compile time only)
; SGPRBlocks: 5
; VGPRBlocks: 2
; NumSGPRsForWavesPerEU: 48
; NumVGPRsForWavesPerEU: 23
; AccumOffset: 24
; Occupancy: 8
; WaveLimiterHint : 1
; COMPUTE_PGM_RSRC2:SCRATCH_EN: 0
; COMPUTE_PGM_RSRC2:USER_SGPR: 2
; COMPUTE_PGM_RSRC2:TRAP_HANDLER: 0
; COMPUTE_PGM_RSRC2:TGID_X_EN: 1
; COMPUTE_PGM_RSRC2:TGID_Y_EN: 0
; COMPUTE_PGM_RSRC2:TGID_Z_EN: 1
; COMPUTE_PGM_RSRC2:TIDIG_COMP_CNT: 1
; COMPUTE_PGM_RSRC3_GFX90A:ACCUM_OFFSET: 5
; COMPUTE_PGM_RSRC3_GFX90A:TG_SPLIT: 0
	.section	.text._ZL20rocblas_gbmvt_kernelILi64ELi16E24rocblas_internal_val_ptrI19rocblas_complex_numIdEEPKPKS2_PKPS2_Evb18rocblas_operation_iiiiT1_T2_lllSD_lllSC_T3_llli,"axG",@progbits,_ZL20rocblas_gbmvt_kernelILi64ELi16E24rocblas_internal_val_ptrI19rocblas_complex_numIdEEPKPKS2_PKPS2_Evb18rocblas_operation_iiiiT1_T2_lllSD_lllSC_T3_llli,comdat
	.globl	_ZL20rocblas_gbmvt_kernelILi64ELi16E24rocblas_internal_val_ptrI19rocblas_complex_numIdEEPKPKS2_PKPS2_Evb18rocblas_operation_iiiiT1_T2_lllSD_lllSC_T3_llli ; -- Begin function _ZL20rocblas_gbmvt_kernelILi64ELi16E24rocblas_internal_val_ptrI19rocblas_complex_numIdEEPKPKS2_PKPS2_Evb18rocblas_operation_iiiiT1_T2_lllSD_lllSC_T3_llli
	.p2align	8
	.type	_ZL20rocblas_gbmvt_kernelILi64ELi16E24rocblas_internal_val_ptrI19rocblas_complex_numIdEEPKPKS2_PKPS2_Evb18rocblas_operation_iiiiT1_T2_lllSD_lllSC_T3_llli,@function
_ZL20rocblas_gbmvt_kernelILi64ELi16E24rocblas_internal_val_ptrI19rocblas_complex_numIdEEPKPKS2_PKPS2_Evb18rocblas_operation_iiiiT1_T2_lllSD_lllSC_T3_llli: ; @_ZL20rocblas_gbmvt_kernelILi64ELi16E24rocblas_internal_val_ptrI19rocblas_complex_numIdEEPKPKS2_PKPS2_Evb18rocblas_operation_iiiiT1_T2_lllSD_lllSC_T3_llli
; %bb.0:
	s_load_dwordx4 s[20:23], s[0:1], 0x0
	s_load_dwordx2 s[14:15], s[0:1], 0x18
	s_load_dwordx2 s[24:25], s[0:1], 0x88
	s_load_dwordx8 s[4:11], s[0:1], 0x68
	s_mov_b32 s26, s3
	s_mov_b64 s[28:29], -1
	s_waitcnt lgkmcnt(0)
	s_bitcmp1_b32 s20, 0
	s_cselect_b64 s[12:13], -1, 0
	s_xor_b64 s[12:13], s[12:13], -1
	s_and_b64 vcc, exec, s[12:13]
                                        ; implicit-def: $sgpr18_sgpr19
	s_cbranch_vccnz .LBB11_4
; %bb.1:
	s_andn2_b64 vcc, exec, s[28:29]
	s_cbranch_vccz .LBB11_5
.LBB11_2:
	s_and_b64 vcc, exec, s[12:13]
	s_cbranch_vccz .LBB11_6
.LBB11_3:
	s_load_dwordx4 s[12:15], s[4:5], 0x0
	s_cbranch_execz .LBB11_7
	s_branch .LBB11_8
.LBB11_4:
	s_load_dwordx4 s[16:19], s[14:15], 0x0
	s_cbranch_execnz .LBB11_2
.LBB11_5:
	s_waitcnt lgkmcnt(0)
	s_load_dwordx2 s[18:19], s[0:1], 0x20
	s_mov_b64 s[16:17], s[14:15]
	s_and_b64 vcc, exec, s[12:13]
	s_cbranch_vccnz .LBB11_3
.LBB11_6:
                                        ; implicit-def: $sgpr14_sgpr15
.LBB11_7:
	s_waitcnt lgkmcnt(0)
	s_mov_b64 s[12:13], s[4:5]
	s_mov_b64 s[14:15], s[6:7]
.LBB11_8:
	s_load_dwordx4 s[4:7], s[0:1], 0x28
	s_load_dwordx2 s[28:29], s[0:1], 0x38
	s_waitcnt lgkmcnt(0)
	v_cmp_neq_f64_e64 s[34:35], s[16:17], 0
	v_cmp_neq_f64_e64 s[36:37], s[18:19], 0
	s_or_b64 s[34:35], s[34:35], s[36:37]
	s_mov_b32 s27, 0
	s_mov_b64 s[30:31], 0
	s_mov_b64 s[36:37], -1
	s_and_b64 vcc, exec, s[34:35]
	s_mov_b64 s[38:39], s[26:27]
	s_mov_b64 s[40:41], 0
	s_cbranch_vccnz .LBB11_11
; %bb.9:
	v_cmp_eq_f64_e64 s[38:39], s[12:13], 1.0
	v_cmp_eq_f64_e64 s[40:41], s[14:15], 0
	s_and_b64 s[38:39], s[38:39], s[40:41]
	s_mov_b64 s[36:37], 0
	s_andn2_b64 vcc, exec, s[38:39]
	s_mov_b64 s[40:41], 0
                                        ; implicit-def: $sgpr38_sgpr39
	s_cbranch_vccz .LBB11_11
; %bb.10:
	s_mov_b32 s39, 0
	s_mov_b32 s38, s26
	s_mov_b64 s[40:41], -1
.LBB11_11:
	s_and_b64 vcc, exec, s[36:37]
	s_cbranch_vccz .LBB11_13
; %bb.12:
	s_lshl_b64 s[26:27], s[26:27], 3
	s_add_u32 s4, s4, s26
	s_addc_u32 s5, s5, s27
	s_load_dwordx2 s[4:5], s[4:5], 0x0
	s_lshl_b64 s[6:7], s[6:7], 4
	s_mov_b64 s[40:41], -1
	s_waitcnt lgkmcnt(0)
	s_add_u32 s30, s4, s6
	s_addc_u32 s31, s5, s7
.LBB11_13:
	s_andn2_b64 vcc, exec, s[40:41]
	s_cbranch_vccnz .LBB11_34
; %bb.14:
	s_load_dwordx2 s[26:27], s[0:1], 0x10
	s_load_dwordx4 s[4:7], s[0:1], 0x48
	s_load_dwordx2 s[36:37], s[0:1], 0x58
	s_andn2_b64 vcc, exec, s[34:35]
	s_mov_b64 s[40:41], 0
	s_cbranch_vccnz .LBB11_16
; %bb.15:
	s_lshl_b64 s[0:1], s[38:39], 3
	s_waitcnt lgkmcnt(0)
	s_add_u32 s0, s4, s0
	s_addc_u32 s1, s5, s1
	s_load_dwordx2 s[0:1], s[0:1], 0x0
	s_lshl_b64 s[4:5], s[6:7], 4
	s_waitcnt lgkmcnt(0)
	s_add_u32 s40, s0, s4
	s_addc_u32 s41, s1, s5
.LBB11_16:
	v_bfe_u32 v1, v0, 10, 10
	v_lshl_add_u32 v8, s2, 4, v1
	v_cmp_gt_i32_e32 vcc, s23, v8
	s_and_saveexec_b64 s[0:1], vcc
	s_cbranch_execz .LBB11_34
; %bb.17:
	s_xor_b64 s[2:3], s[34:35], -1
	s_lshl_b64 s[0:1], s[38:39], 3
	s_add_u32 s0, s8, s0
	s_addc_u32 s1, s9, s1
	s_andn2_b64 vcc, exec, s[2:3]
	s_cbranch_vccnz .LBB11_19
; %bb.18:
	s_mov_b64 s[2:3], 0
	v_and_b32_e32 v9, 0x3ff, v0
	s_branch .LBB11_20
.LBB11_19:
	s_mov_b64 s[2:3], -1
                                        ; implicit-def: $vgpr9
.LBB11_20:
	s_waitcnt lgkmcnt(0)
	s_load_dwordx2 s[4:5], s[0:1], 0x0
	v_mov_b64_e32 v[4:5], 0
	s_andn2_b64 vcc, exec, s[2:3]
	v_mov_b64_e32 v[2:3], 0
	s_cbranch_vccnz .LBB11_30
; %bb.21:
	v_and_b32_e32 v9, 0x3ff, v0
	s_add_i32 s23, s27, s26
	v_cmp_ge_i32_e32 vcc, s23, v9
	v_mov_b64_e32 v[0:1], 0
	v_mov_b64_e32 v[2:3], 0
	s_and_saveexec_b64 s[6:7], vcc
	s_cbranch_execz .LBB11_29
; %bb.22:
	v_ashrrev_i32_e32 v6, 31, v8
	v_mul_lo_u32 v2, s29, v8
	v_mul_lo_u32 v3, s28, v6
	v_mad_u64_u32 v[0:1], s[0:1], s28, v8, 0
	v_add3_u32 v1, v1, v3, v2
	v_lshlrev_b32_e32 v2, 4, v9
	v_mov_b32_e32 v3, 0
	v_lshl_add_u64 v[0:1], v[0:1], 4, v[2:3]
	v_sub_u32_e32 v10, s27, v9
	v_lshl_add_u64 v[4:5], s[30:31], 0, v[0:1]
	v_ashrrev_i32_e32 v0, 31, v10
	v_sub_co_u32_e64 v1, s[0:1], v8, v10
	v_mul_lo_u32 v2, s37, v1
	s_nop 0
	v_subb_co_u32_e64 v0, s[0:1], v6, v0, s[0:1]
	v_mul_lo_u32 v3, s36, v0
	v_mad_u64_u32 v[0:1], s[0:1], s36, v1, 0
	s_cmpk_eq_i32 s21, 0x71
	v_add3_u32 v1, v1, v3, v2
	s_cselect_b64 vcc, -1, 0
	v_lshl_add_u64 v[6:7], v[0:1], 4, s[40:41]
	s_lshl_b64 s[8:9], s[36:37], 10
	v_mov_b64_e32 v[0:1], 0
	s_mov_b64 s[20:21], 0
	s_mov_b64 s[28:29], 0x400
	v_mov_b32_e32 v11, v9
	v_mov_b64_e32 v[2:3], 0
	s_branch .LBB11_25
.LBB11_23:                              ;   in Loop: Header=BB11_25 Depth=1
	s_or_b64 exec, exec, s[0:1]
.LBB11_24:                              ;   in Loop: Header=BB11_25 Depth=1
	s_or_b64 exec, exec, s[30:31]
	v_add_u32_e32 v11, 64, v11
	v_cmp_lt_i32_e64 s[0:1], s23, v11
	v_lshl_add_u64 v[4:5], v[4:5], 0, s[28:29]
	v_subrev_u32_e32 v10, 64, v10
	s_or_b64 s[20:21], s[0:1], s[20:21]
	v_lshl_add_u64 v[6:7], v[6:7], 0, s[8:9]
	s_andn2_b64 exec, exec, s[20:21]
	s_cbranch_execz .LBB11_28
.LBB11_25:                              ; =>This Inner Loop Header: Depth=1
	v_add_u32_e32 v12, s22, v10
	v_cmp_lt_i32_e64 s[0:1], v8, v12
	s_and_saveexec_b64 s[30:31], s[0:1]
	s_cbranch_execz .LBB11_24
; %bb.26:                               ;   in Loop: Header=BB11_25 Depth=1
	v_cmp_lt_i32_e64 s[0:1], s27, v11
	v_cmp_ge_i32_e64 s[2:3], v8, v10
	s_or_b64 s[2:3], s[0:1], s[2:3]
	s_and_saveexec_b64 s[0:1], s[2:3]
	s_cbranch_execz .LBB11_23
; %bb.27:                               ;   in Loop: Header=BB11_25 Depth=1
	flat_load_dwordx4 v[12:15], v[4:5]
	flat_load_dwordx4 v[16:19], v[6:7]
	s_waitcnt vmcnt(0) lgkmcnt(0)
	v_xor_b32_e32 v22, 0x80000000, v15
	v_cndmask_b32_e32 v15, v15, v22, vcc
	v_mul_f64 v[20:21], v[12:13], v[18:19]
	v_mul_f64 v[18:19], v[14:15], v[18:19]
	v_fmac_f64_e32 v[20:21], v[14:15], v[16:17]
	v_fma_f64 v[12:13], v[12:13], v[16:17], -v[18:19]
	v_add_f64 v[2:3], v[2:3], v[12:13]
	v_add_f64 v[0:1], v[0:1], v[20:21]
	s_branch .LBB11_23
.LBB11_28:
	s_or_b64 exec, exec, s[20:21]
.LBB11_29:
	s_or_b64 exec, exec, s[6:7]
	v_mbcnt_lo_u32_b32 v4, -1, 0
	v_mbcnt_hi_u32_b32 v10, -1, v4
	v_mov_b32_e32 v4, 0x80
	v_lshl_or_b32 v7, v10, 2, v4
	ds_bpermute_b32 v4, v7, v2
	ds_bpermute_b32 v5, v7, v3
	;; [unrolled: 1-line block ×4, first 2 shown]
	v_and_b32_e32 v11, 63, v10
	v_cmp_gt_u32_e32 vcc, 48, v11
	s_waitcnt lgkmcnt(0)
	v_add_f64 v[2:3], v[2:3], v[4:5]
	v_cndmask_b32_e64 v4, 0, 16, vcc
	v_add_f64 v[0:1], v[0:1], v[6:7]
	v_add_lshl_u32 v7, v4, v10, 2
	ds_bpermute_b32 v4, v7, v2
	ds_bpermute_b32 v5, v7, v3
	;; [unrolled: 1-line block ×4, first 2 shown]
	v_cmp_gt_u32_e32 vcc, 56, v11
	s_barrier
	s_waitcnt lgkmcnt(2)
	v_add_f64 v[2:3], v[2:3], v[4:5]
	v_cndmask_b32_e64 v4, 0, 8, vcc
	s_waitcnt lgkmcnt(0)
	v_add_f64 v[0:1], v[0:1], v[6:7]
	v_add_lshl_u32 v7, v4, v10, 2
	ds_bpermute_b32 v4, v7, v2
	ds_bpermute_b32 v5, v7, v3
	;; [unrolled: 1-line block ×4, first 2 shown]
	v_cmp_gt_u32_e32 vcc, 60, v11
	s_waitcnt lgkmcnt(0)
	v_add_f64 v[2:3], v[2:3], v[4:5]
	v_cndmask_b32_e64 v4, 0, 4, vcc
	v_add_f64 v[0:1], v[0:1], v[6:7]
	v_add_lshl_u32 v7, v4, v10, 2
	ds_bpermute_b32 v4, v7, v2
	ds_bpermute_b32 v5, v7, v3
	;; [unrolled: 1-line block ×4, first 2 shown]
	v_cmp_gt_u32_e32 vcc, 62, v11
	s_waitcnt lgkmcnt(2)
	v_add_f64 v[2:3], v[2:3], v[4:5]
	v_cndmask_b32_e64 v4, 0, 2, vcc
	s_waitcnt lgkmcnt(0)
	v_add_f64 v[0:1], v[0:1], v[6:7]
	v_add_lshl_u32 v7, v4, v10, 2
	ds_bpermute_b32 v4, v7, v2
	ds_bpermute_b32 v5, v7, v3
	;; [unrolled: 1-line block ×4, first 2 shown]
	v_cmp_ne_u32_e32 vcc, 63, v11
	s_waitcnt lgkmcnt(2)
	v_add_f64 v[2:3], v[2:3], v[4:5]
	v_addc_co_u32_e32 v4, vcc, 0, v10, vcc
	s_waitcnt lgkmcnt(0)
	v_add_f64 v[0:1], v[0:1], v[6:7]
	v_lshlrev_b32_e32 v7, 2, v4
	ds_bpermute_b32 v4, v7, v2
	ds_bpermute_b32 v5, v7, v3
	;; [unrolled: 1-line block ×4, first 2 shown]
	s_waitcnt lgkmcnt(2)
	v_add_f64 v[10:11], v[2:3], v[4:5]
	s_waitcnt lgkmcnt(0)
	v_add_f64 v[0:1], v[0:1], v[6:7]
	v_mul_f64 v[2:3], s[18:19], v[0:1]
	v_mul_f64 v[4:5], s[16:17], v[0:1]
	v_fma_f64 v[2:3], s[16:17], v[10:11], -v[2:3]
	v_fmac_f64_e32 v[4:5], s[18:19], v[10:11]
.LBB11_30:
	v_cmp_eq_u32_e32 vcc, 0, v9
	s_and_b64 exec, exec, vcc
	s_cbranch_execz .LBB11_34
; %bb.31:
	s_lshl_b64 s[0:1], s[10:11], 4
	s_waitcnt lgkmcnt(0)
	s_add_u32 s0, s4, s0
	v_ashrrev_i32_e32 v0, 31, v8
	s_addc_u32 s1, s5, s1
	v_cmp_neq_f64_e64 s[2:3], s[12:13], 0
	v_cmp_neq_f64_e64 s[4:5], s[14:15], 0
	v_mul_lo_u32 v6, s25, v8
	v_mul_lo_u32 v7, s24, v0
	v_mad_u64_u32 v[0:1], s[6:7], s24, v8, 0
	v_add3_u32 v1, v1, v7, v6
	s_or_b64 s[2:3], s[2:3], s[4:5]
	s_andn2_b64 vcc, exec, s[2:3]
	v_lshl_add_u64 v[0:1], v[0:1], 4, s[0:1]
	s_cbranch_vccnz .LBB11_33
; %bb.32:
	flat_load_dwordx4 v[6:9], v[0:1]
	s_waitcnt vmcnt(0) lgkmcnt(0)
	v_mul_f64 v[10:11], s[14:15], v[8:9]
	v_mul_f64 v[8:9], s[12:13], v[8:9]
	v_fma_f64 v[10:11], s[12:13], v[6:7], -v[10:11]
	v_fmac_f64_e32 v[8:9], s[14:15], v[6:7]
	v_add_f64 v[2:3], v[2:3], v[10:11]
	v_add_f64 v[4:5], v[4:5], v[8:9]
.LBB11_33:
	flat_store_dwordx4 v[0:1], v[2:5]
.LBB11_34:
	s_endpgm
	.section	.rodata,"a",@progbits
	.p2align	6, 0x0
	.amdhsa_kernel _ZL20rocblas_gbmvt_kernelILi64ELi16E24rocblas_internal_val_ptrI19rocblas_complex_numIdEEPKPKS2_PKPS2_Evb18rocblas_operation_iiiiT1_T2_lllSD_lllSC_T3_llli
		.amdhsa_group_segment_fixed_size 0
		.amdhsa_private_segment_fixed_size 0
		.amdhsa_kernarg_size 156
		.amdhsa_user_sgpr_count 2
		.amdhsa_user_sgpr_dispatch_ptr 0
		.amdhsa_user_sgpr_queue_ptr 0
		.amdhsa_user_sgpr_kernarg_segment_ptr 1
		.amdhsa_user_sgpr_dispatch_id 0
		.amdhsa_user_sgpr_kernarg_preload_length 0
		.amdhsa_user_sgpr_kernarg_preload_offset 0
		.amdhsa_user_sgpr_private_segment_size 0
		.amdhsa_uses_dynamic_stack 0
		.amdhsa_enable_private_segment 0
		.amdhsa_system_sgpr_workgroup_id_x 1
		.amdhsa_system_sgpr_workgroup_id_y 0
		.amdhsa_system_sgpr_workgroup_id_z 1
		.amdhsa_system_sgpr_workgroup_info 0
		.amdhsa_system_vgpr_workitem_id 1
		.amdhsa_next_free_vgpr 23
		.amdhsa_next_free_sgpr 42
		.amdhsa_accum_offset 24
		.amdhsa_reserve_vcc 1
		.amdhsa_float_round_mode_32 0
		.amdhsa_float_round_mode_16_64 0
		.amdhsa_float_denorm_mode_32 3
		.amdhsa_float_denorm_mode_16_64 3
		.amdhsa_dx10_clamp 1
		.amdhsa_ieee_mode 1
		.amdhsa_fp16_overflow 0
		.amdhsa_tg_split 0
		.amdhsa_exception_fp_ieee_invalid_op 0
		.amdhsa_exception_fp_denorm_src 0
		.amdhsa_exception_fp_ieee_div_zero 0
		.amdhsa_exception_fp_ieee_overflow 0
		.amdhsa_exception_fp_ieee_underflow 0
		.amdhsa_exception_fp_ieee_inexact 0
		.amdhsa_exception_int_div_zero 0
	.end_amdhsa_kernel
	.section	.text._ZL20rocblas_gbmvt_kernelILi64ELi16E24rocblas_internal_val_ptrI19rocblas_complex_numIdEEPKPKS2_PKPS2_Evb18rocblas_operation_iiiiT1_T2_lllSD_lllSC_T3_llli,"axG",@progbits,_ZL20rocblas_gbmvt_kernelILi64ELi16E24rocblas_internal_val_ptrI19rocblas_complex_numIdEEPKPKS2_PKPS2_Evb18rocblas_operation_iiiiT1_T2_lllSD_lllSC_T3_llli,comdat
.Lfunc_end11:
	.size	_ZL20rocblas_gbmvt_kernelILi64ELi16E24rocblas_internal_val_ptrI19rocblas_complex_numIdEEPKPKS2_PKPS2_Evb18rocblas_operation_iiiiT1_T2_lllSD_lllSC_T3_llli, .Lfunc_end11-_ZL20rocblas_gbmvt_kernelILi64ELi16E24rocblas_internal_val_ptrI19rocblas_complex_numIdEEPKPKS2_PKPS2_Evb18rocblas_operation_iiiiT1_T2_lllSD_lllSC_T3_llli
                                        ; -- End function
	.set _ZL20rocblas_gbmvt_kernelILi64ELi16E24rocblas_internal_val_ptrI19rocblas_complex_numIdEEPKPKS2_PKPS2_Evb18rocblas_operation_iiiiT1_T2_lllSD_lllSC_T3_llli.num_vgpr, 23
	.set _ZL20rocblas_gbmvt_kernelILi64ELi16E24rocblas_internal_val_ptrI19rocblas_complex_numIdEEPKPKS2_PKPS2_Evb18rocblas_operation_iiiiT1_T2_lllSD_lllSC_T3_llli.num_agpr, 0
	.set _ZL20rocblas_gbmvt_kernelILi64ELi16E24rocblas_internal_val_ptrI19rocblas_complex_numIdEEPKPKS2_PKPS2_Evb18rocblas_operation_iiiiT1_T2_lllSD_lllSC_T3_llli.numbered_sgpr, 42
	.set _ZL20rocblas_gbmvt_kernelILi64ELi16E24rocblas_internal_val_ptrI19rocblas_complex_numIdEEPKPKS2_PKPS2_Evb18rocblas_operation_iiiiT1_T2_lllSD_lllSC_T3_llli.num_named_barrier, 0
	.set _ZL20rocblas_gbmvt_kernelILi64ELi16E24rocblas_internal_val_ptrI19rocblas_complex_numIdEEPKPKS2_PKPS2_Evb18rocblas_operation_iiiiT1_T2_lllSD_lllSC_T3_llli.private_seg_size, 0
	.set _ZL20rocblas_gbmvt_kernelILi64ELi16E24rocblas_internal_val_ptrI19rocblas_complex_numIdEEPKPKS2_PKPS2_Evb18rocblas_operation_iiiiT1_T2_lllSD_lllSC_T3_llli.uses_vcc, 1
	.set _ZL20rocblas_gbmvt_kernelILi64ELi16E24rocblas_internal_val_ptrI19rocblas_complex_numIdEEPKPKS2_PKPS2_Evb18rocblas_operation_iiiiT1_T2_lllSD_lllSC_T3_llli.uses_flat_scratch, 0
	.set _ZL20rocblas_gbmvt_kernelILi64ELi16E24rocblas_internal_val_ptrI19rocblas_complex_numIdEEPKPKS2_PKPS2_Evb18rocblas_operation_iiiiT1_T2_lllSD_lllSC_T3_llli.has_dyn_sized_stack, 0
	.set _ZL20rocblas_gbmvt_kernelILi64ELi16E24rocblas_internal_val_ptrI19rocblas_complex_numIdEEPKPKS2_PKPS2_Evb18rocblas_operation_iiiiT1_T2_lllSD_lllSC_T3_llli.has_recursion, 0
	.set _ZL20rocblas_gbmvt_kernelILi64ELi16E24rocblas_internal_val_ptrI19rocblas_complex_numIdEEPKPKS2_PKPS2_Evb18rocblas_operation_iiiiT1_T2_lllSD_lllSC_T3_llli.has_indirect_call, 0
	.section	.AMDGPU.csdata,"",@progbits
; Kernel info:
; codeLenInByte = 1536
; TotalNumSgprs: 48
; NumVgprs: 23
; NumAgprs: 0
; TotalNumVgprs: 23
; ScratchSize: 0
; MemoryBound: 0
; FloatMode: 240
; IeeeMode: 1
; LDSByteSize: 0 bytes/workgroup (compile time only)
; SGPRBlocks: 5
; VGPRBlocks: 2
; NumSGPRsForWavesPerEU: 48
; NumVGPRsForWavesPerEU: 23
; AccumOffset: 24
; Occupancy: 8
; WaveLimiterHint : 1
; COMPUTE_PGM_RSRC2:SCRATCH_EN: 0
; COMPUTE_PGM_RSRC2:USER_SGPR: 2
; COMPUTE_PGM_RSRC2:TRAP_HANDLER: 0
; COMPUTE_PGM_RSRC2:TGID_X_EN: 1
; COMPUTE_PGM_RSRC2:TGID_Y_EN: 0
; COMPUTE_PGM_RSRC2:TGID_Z_EN: 1
; COMPUTE_PGM_RSRC2:TIDIG_COMP_CNT: 1
; COMPUTE_PGM_RSRC3_GFX90A:ACCUM_OFFSET: 5
; COMPUTE_PGM_RSRC3_GFX90A:TG_SPLIT: 0
	.section	.text._ZL20rocblas_gbmvn_kernelILi32ELi32E24rocblas_internal_val_ptrIfEPKfPfEvbiiiiT1_T2_lllS6_lllS5_T3_llli,"axG",@progbits,_ZL20rocblas_gbmvn_kernelILi32ELi32E24rocblas_internal_val_ptrIfEPKfPfEvbiiiiT1_T2_lllS6_lllS5_T3_llli,comdat
	.globl	_ZL20rocblas_gbmvn_kernelILi32ELi32E24rocblas_internal_val_ptrIfEPKfPfEvbiiiiT1_T2_lllS6_lllS5_T3_llli ; -- Begin function _ZL20rocblas_gbmvn_kernelILi32ELi32E24rocblas_internal_val_ptrIfEPKfPfEvbiiiiT1_T2_lllS6_lllS5_T3_llli
	.p2align	8
	.type	_ZL20rocblas_gbmvn_kernelILi32ELi32E24rocblas_internal_val_ptrIfEPKfPfEvbiiiiT1_T2_lllS6_lllS5_T3_llli,@function
_ZL20rocblas_gbmvn_kernelILi32ELi32E24rocblas_internal_val_ptrIfEPKfPfEvbiiiiT1_T2_lllS6_lllS5_T3_llli: ; @_ZL20rocblas_gbmvn_kernelILi32ELi32E24rocblas_internal_val_ptrIfEPKfPfEvbiiiiT1_T2_lllS6_lllS5_T3_llli
; %bb.0:
	s_load_dwordx4 s[36:39], s[0:1], 0x0
	s_load_dwordx16 s[4:19], s[0:1], 0x18
	s_load_dwordx4 s[28:31], s[0:1], 0x78
	s_load_dwordx8 s[20:27], s[0:1], 0x58
	s_mov_b64 s[40:41], -1
                                        ; implicit-def: $sgpr33
	s_waitcnt lgkmcnt(0)
	s_bitcmp1_b32 s36, 0
	s_cselect_b64 s[34:35], -1, 0
	s_xor_b64 s[34:35], s[34:35], -1
	s_and_b64 vcc, exec, s[34:35]
	s_cbranch_vccnz .LBB12_8
; %bb.1:
	s_andn2_b64 vcc, exec, s[40:41]
	s_cbranch_vccz .LBB12_9
.LBB12_2:
	s_andn2_b64 vcc, exec, s[34:35]
	s_cbranch_vccnz .LBB12_4
.LBB12_3:
	s_load_dword s22, s[22:23], 0x0
.LBB12_4:
	s_waitcnt lgkmcnt(0)
	v_cmp_eq_f32_e64 s[4:5], s33, 0
	v_cmp_eq_f32_e64 s[34:35], s22, 1.0
	s_and_b64 s[4:5], s[4:5], s[34:35]
	s_and_b64 vcc, exec, s[4:5]
	s_cbranch_vccnz .LBB12_22
; %bb.5:
	s_load_dword s4, s[0:1], 0x10
	v_bfe_u32 v1, v0, 10, 10
	v_lshl_add_u32 v6, s2, 5, v1
	v_cmp_gt_i32_e32 vcc, s37, v6
	s_and_saveexec_b64 s[0:1], vcc
	s_cbranch_execz .LBB12_22
; %bb.6:
	v_cmp_neq_f32_e64 s[0:1], s33, 0
	s_and_b64 vcc, exec, s[0:1]
	s_cbranch_vccnz .LBB12_10
; %bb.7:
	v_and_b32_e32 v7, 0x3ff, v0
	v_mov_b32_e32 v2, 0
	s_cbranch_execz .LBB12_11
	s_branch .LBB12_18
.LBB12_8:
	s_load_dword s33, s[4:5], 0x0
	s_cbranch_execnz .LBB12_2
.LBB12_9:
	s_waitcnt lgkmcnt(0)
	s_mov_b32 s33, s4
	s_andn2_b64 vcc, exec, s[34:35]
	s_cbranch_vccz .LBB12_3
	s_branch .LBB12_4
.LBB12_10:
                                        ; implicit-def: $vgpr7
	v_mov_b32_e32 v2, 0
.LBB12_11:
	v_and_b32_e32 v7, 0x3ff, v0
	v_min_i32_e32 v1, s39, v6
	s_waitcnt lgkmcnt(0)
	v_sub_u32_e32 v0, s4, v7
	v_add_u32_e32 v0, v0, v1
	v_cmp_lt_i32_e32 vcc, -1, v0
	v_mov_b32_e32 v1, 0
	s_and_saveexec_b64 s[0:1], vcc
	s_cbranch_execz .LBB12_17
; %bb.12:
	v_subrev_u32_e32 v1, s39, v6
	v_max_i32_e32 v1, 0, v1
	v_add_u32_e32 v8, v1, v7
	v_mad_u64_u32 v[2:3], s[4:5], s18, v8, 0
	s_mul_i32 s2, s21, s3
	s_mul_hi_u32 s4, s20, s3
	s_add_i32 s5, s4, s2
	s_mul_i32 s4, s20, s3
	s_lshl_b64 s[4:5], s[4:5], 2
	s_lshl_b64 s[16:17], s[16:17], 2
	s_add_u32 s2, s14, s16
	v_ashrrev_i32_e32 v1, 31, v8
	s_addc_u32 s14, s15, s17
	v_mul_lo_u32 v4, s18, v1
	v_mul_lo_u32 v5, s19, v8
	s_add_u32 s4, s2, s4
	s_mul_i32 s2, s13, s3
	s_mul_hi_u32 s13, s12, s3
	v_add3_u32 v3, v3, v4, v5
	s_addc_u32 s5, s14, s5
	s_add_i32 s13, s13, s2
	s_mul_i32 s12, s12, s3
	v_lshl_add_u64 v[2:3], v[2:3], 2, s[4:5]
	s_lshl_b64 s[4:5], s[18:19], 7
	s_lshl_b64 s[12:13], s[12:13], 2
	;; [unrolled: 1-line block ×3, first 2 shown]
	v_mul_lo_u32 v1, s10, v1
	v_mul_lo_u32 v9, s11, v8
	v_mad_u64_u32 v[4:5], s[14:15], s10, v8, 0
	s_add_u32 s8, s8, s12
	v_add3_u32 v5, v5, v1, v9
	s_addc_u32 s9, s9, s13
	v_lshl_add_u64 v[4:5], v[4:5], 2, s[8:9]
	v_mov_b32_e32 v1, 0
	v_lshl_add_u64 v[4:5], v[0:1], 2, v[4:5]
	v_lshl_add_u64 v[4:5], s[6:7], 0, v[4:5]
	s_lshl_b64 s[6:7], s[10:11], 7
	s_add_u32 s6, s6, 0xffffff80
	s_addc_u32 s7, s7, -1
	s_mov_b64 s[8:9], 0
	s_mov_b64 s[10:11], 0
	s_branch .LBB12_14
.LBB12_13:                              ;   in Loop: Header=BB12_14 Depth=1
	s_or_b64 exec, exec, s[12:13]
	s_add_u32 s10, s10, 0xffffffe0
	v_add3_u32 v9, v0, s10, 32
	s_addc_u32 s11, s11, -1
	v_cmp_gt_u32_e32 vcc, 32, v9
	v_add_u32_e32 v8, 32, v8
	v_lshl_add_u64 v[2:3], v[2:3], 0, s[4:5]
	s_or_b64 s[8:9], vcc, s[8:9]
	v_lshl_add_u64 v[4:5], v[4:5], 0, s[6:7]
	s_andn2_b64 exec, exec, s[8:9]
	s_cbranch_execz .LBB12_16
.LBB12_14:                              ; =>This Inner Loop Header: Depth=1
	v_cmp_gt_i32_e32 vcc, s38, v8
	s_and_saveexec_b64 s[12:13], vcc
	s_cbranch_execz .LBB12_13
; %bb.15:                               ;   in Loop: Header=BB12_14 Depth=1
	global_load_dword v9, v[4:5], off
	global_load_dword v10, v[2:3], off
	s_waitcnt vmcnt(0)
	v_fmac_f32_e32 v1, v9, v10
	s_branch .LBB12_13
.LBB12_16:
	s_or_b64 exec, exec, s[8:9]
.LBB12_17:
	s_or_b64 exec, exec, s[0:1]
	v_mbcnt_lo_u32_b32 v0, -1, 0
	v_mbcnt_hi_u32_b32 v0, -1, v0
	v_and_b32_e32 v2, 63, v0
	v_cmp_gt_u32_e32 vcc, 48, v2
	s_barrier
	s_nop 0
	v_cndmask_b32_e64 v3, 0, 16, vcc
	v_add_lshl_u32 v3, v3, v0, 2
	ds_bpermute_b32 v3, v3, v1
	v_cmp_gt_u32_e32 vcc, 56, v2
	s_waitcnt lgkmcnt(0)
	v_add_f32_e32 v1, v1, v3
	v_cndmask_b32_e64 v4, 0, 8, vcc
	v_add_lshl_u32 v4, v4, v0, 2
	ds_bpermute_b32 v3, v4, v1
	v_cmp_gt_u32_e32 vcc, 60, v2
	s_waitcnt lgkmcnt(0)
	v_add_f32_e32 v1, v1, v3
	;; [unrolled: 6-line block ×3, first 2 shown]
	v_cndmask_b32_e64 v4, 0, 2, vcc
	v_add_lshl_u32 v4, v4, v0, 2
	ds_bpermute_b32 v3, v4, v1
	v_cmp_ne_u32_e32 vcc, 63, v2
	s_waitcnt lgkmcnt(0)
	v_add_f32_e32 v1, v1, v3
	v_addc_co_u32_e32 v0, vcc, 0, v0, vcc
	v_lshlrev_b32_e32 v0, 2, v0
	ds_bpermute_b32 v0, v0, v1
	s_waitcnt lgkmcnt(0)
	v_add_f32_e32 v0, v1, v0
	v_mul_f32_e32 v2, s33, v0
.LBB12_18:
	v_cmp_eq_u32_e32 vcc, 0, v7
	s_and_b64 exec, exec, vcc
	s_cbranch_execz .LBB12_22
; %bb.19:
	s_mul_i32 s0, s31, s3
	s_mul_hi_u32 s1, s30, s3
	s_add_i32 s1, s1, s0
	s_mul_i32 s0, s30, s3
	s_lshl_b64 s[0:1], s[0:1], 2
	s_add_u32 s2, s24, s0
	s_addc_u32 s3, s25, s1
	s_lshl_b64 s[0:1], s[26:27], 2
	v_ashrrev_i32_e32 v0, 31, v6
	s_add_u32 s0, s2, s0
	v_mul_lo_u32 v3, s29, v6
	v_mul_lo_u32 v4, s28, v0
	s_waitcnt lgkmcnt(0)
	v_mad_u64_u32 v[0:1], s[4:5], s28, v6, 0
	s_addc_u32 s1, s3, s1
	v_cmp_eq_f32_e64 s[2:3], s22, 0
	v_add3_u32 v1, v1, v4, v3
	v_lshl_add_u64 v[0:1], v[0:1], 2, s[0:1]
	s_and_b64 vcc, exec, s[2:3]
	s_cbranch_vccnz .LBB12_21
; %bb.20:
	global_load_dword v3, v[0:1], off
	s_waitcnt vmcnt(0)
	v_fmac_f32_e32 v2, s22, v3
.LBB12_21:
	global_store_dword v[0:1], v2, off
.LBB12_22:
	s_endpgm
	.section	.rodata,"a",@progbits
	.p2align	6, 0x0
	.amdhsa_kernel _ZL20rocblas_gbmvn_kernelILi32ELi32E24rocblas_internal_val_ptrIfEPKfPfEvbiiiiT1_T2_lllS6_lllS5_T3_llli
		.amdhsa_group_segment_fixed_size 0
		.amdhsa_private_segment_fixed_size 0
		.amdhsa_kernarg_size 140
		.amdhsa_user_sgpr_count 2
		.amdhsa_user_sgpr_dispatch_ptr 0
		.amdhsa_user_sgpr_queue_ptr 0
		.amdhsa_user_sgpr_kernarg_segment_ptr 1
		.amdhsa_user_sgpr_dispatch_id 0
		.amdhsa_user_sgpr_kernarg_preload_length 0
		.amdhsa_user_sgpr_kernarg_preload_offset 0
		.amdhsa_user_sgpr_private_segment_size 0
		.amdhsa_uses_dynamic_stack 0
		.amdhsa_enable_private_segment 0
		.amdhsa_system_sgpr_workgroup_id_x 1
		.amdhsa_system_sgpr_workgroup_id_y 0
		.amdhsa_system_sgpr_workgroup_id_z 1
		.amdhsa_system_sgpr_workgroup_info 0
		.amdhsa_system_vgpr_workitem_id 1
		.amdhsa_next_free_vgpr 11
		.amdhsa_next_free_sgpr 42
		.amdhsa_accum_offset 12
		.amdhsa_reserve_vcc 1
		.amdhsa_float_round_mode_32 0
		.amdhsa_float_round_mode_16_64 0
		.amdhsa_float_denorm_mode_32 3
		.amdhsa_float_denorm_mode_16_64 3
		.amdhsa_dx10_clamp 1
		.amdhsa_ieee_mode 1
		.amdhsa_fp16_overflow 0
		.amdhsa_tg_split 0
		.amdhsa_exception_fp_ieee_invalid_op 0
		.amdhsa_exception_fp_denorm_src 0
		.amdhsa_exception_fp_ieee_div_zero 0
		.amdhsa_exception_fp_ieee_overflow 0
		.amdhsa_exception_fp_ieee_underflow 0
		.amdhsa_exception_fp_ieee_inexact 0
		.amdhsa_exception_int_div_zero 0
	.end_amdhsa_kernel
	.section	.text._ZL20rocblas_gbmvn_kernelILi32ELi32E24rocblas_internal_val_ptrIfEPKfPfEvbiiiiT1_T2_lllS6_lllS5_T3_llli,"axG",@progbits,_ZL20rocblas_gbmvn_kernelILi32ELi32E24rocblas_internal_val_ptrIfEPKfPfEvbiiiiT1_T2_lllS6_lllS5_T3_llli,comdat
.Lfunc_end12:
	.size	_ZL20rocblas_gbmvn_kernelILi32ELi32E24rocblas_internal_val_ptrIfEPKfPfEvbiiiiT1_T2_lllS6_lllS5_T3_llli, .Lfunc_end12-_ZL20rocblas_gbmvn_kernelILi32ELi32E24rocblas_internal_val_ptrIfEPKfPfEvbiiiiT1_T2_lllS6_lllS5_T3_llli
                                        ; -- End function
	.set _ZL20rocblas_gbmvn_kernelILi32ELi32E24rocblas_internal_val_ptrIfEPKfPfEvbiiiiT1_T2_lllS6_lllS5_T3_llli.num_vgpr, 11
	.set _ZL20rocblas_gbmvn_kernelILi32ELi32E24rocblas_internal_val_ptrIfEPKfPfEvbiiiiT1_T2_lllS6_lllS5_T3_llli.num_agpr, 0
	.set _ZL20rocblas_gbmvn_kernelILi32ELi32E24rocblas_internal_val_ptrIfEPKfPfEvbiiiiT1_T2_lllS6_lllS5_T3_llli.numbered_sgpr, 42
	.set _ZL20rocblas_gbmvn_kernelILi32ELi32E24rocblas_internal_val_ptrIfEPKfPfEvbiiiiT1_T2_lllS6_lllS5_T3_llli.num_named_barrier, 0
	.set _ZL20rocblas_gbmvn_kernelILi32ELi32E24rocblas_internal_val_ptrIfEPKfPfEvbiiiiT1_T2_lllS6_lllS5_T3_llli.private_seg_size, 0
	.set _ZL20rocblas_gbmvn_kernelILi32ELi32E24rocblas_internal_val_ptrIfEPKfPfEvbiiiiT1_T2_lllS6_lllS5_T3_llli.uses_vcc, 1
	.set _ZL20rocblas_gbmvn_kernelILi32ELi32E24rocblas_internal_val_ptrIfEPKfPfEvbiiiiT1_T2_lllS6_lllS5_T3_llli.uses_flat_scratch, 0
	.set _ZL20rocblas_gbmvn_kernelILi32ELi32E24rocblas_internal_val_ptrIfEPKfPfEvbiiiiT1_T2_lllS6_lllS5_T3_llli.has_dyn_sized_stack, 0
	.set _ZL20rocblas_gbmvn_kernelILi32ELi32E24rocblas_internal_val_ptrIfEPKfPfEvbiiiiT1_T2_lllS6_lllS5_T3_llli.has_recursion, 0
	.set _ZL20rocblas_gbmvn_kernelILi32ELi32E24rocblas_internal_val_ptrIfEPKfPfEvbiiiiT1_T2_lllS6_lllS5_T3_llli.has_indirect_call, 0
	.section	.AMDGPU.csdata,"",@progbits
; Kernel info:
; codeLenInByte = 940
; TotalNumSgprs: 48
; NumVgprs: 11
; NumAgprs: 0
; TotalNumVgprs: 11
; ScratchSize: 0
; MemoryBound: 0
; FloatMode: 240
; IeeeMode: 1
; LDSByteSize: 0 bytes/workgroup (compile time only)
; SGPRBlocks: 5
; VGPRBlocks: 1
; NumSGPRsForWavesPerEU: 48
; NumVGPRsForWavesPerEU: 11
; AccumOffset: 12
; Occupancy: 8
; WaveLimiterHint : 0
; COMPUTE_PGM_RSRC2:SCRATCH_EN: 0
; COMPUTE_PGM_RSRC2:USER_SGPR: 2
; COMPUTE_PGM_RSRC2:TRAP_HANDLER: 0
; COMPUTE_PGM_RSRC2:TGID_X_EN: 1
; COMPUTE_PGM_RSRC2:TGID_Y_EN: 0
; COMPUTE_PGM_RSRC2:TGID_Z_EN: 1
; COMPUTE_PGM_RSRC2:TIDIG_COMP_CNT: 1
; COMPUTE_PGM_RSRC3_GFX90A:ACCUM_OFFSET: 2
; COMPUTE_PGM_RSRC3_GFX90A:TG_SPLIT: 0
	.section	.text._ZL20rocblas_gbmvn_kernelILi64ELi16E24rocblas_internal_val_ptrIfEPKfPfEvbiiiiT1_T2_lllS6_lllS5_T3_llli,"axG",@progbits,_ZL20rocblas_gbmvn_kernelILi64ELi16E24rocblas_internal_val_ptrIfEPKfPfEvbiiiiT1_T2_lllS6_lllS5_T3_llli,comdat
	.globl	_ZL20rocblas_gbmvn_kernelILi64ELi16E24rocblas_internal_val_ptrIfEPKfPfEvbiiiiT1_T2_lllS6_lllS5_T3_llli ; -- Begin function _ZL20rocblas_gbmvn_kernelILi64ELi16E24rocblas_internal_val_ptrIfEPKfPfEvbiiiiT1_T2_lllS6_lllS5_T3_llli
	.p2align	8
	.type	_ZL20rocblas_gbmvn_kernelILi64ELi16E24rocblas_internal_val_ptrIfEPKfPfEvbiiiiT1_T2_lllS6_lllS5_T3_llli,@function
_ZL20rocblas_gbmvn_kernelILi64ELi16E24rocblas_internal_val_ptrIfEPKfPfEvbiiiiT1_T2_lllS6_lllS5_T3_llli: ; @_ZL20rocblas_gbmvn_kernelILi64ELi16E24rocblas_internal_val_ptrIfEPKfPfEvbiiiiT1_T2_lllS6_lllS5_T3_llli
; %bb.0:
	s_load_dwordx4 s[36:39], s[0:1], 0x0
	s_load_dwordx16 s[4:19], s[0:1], 0x18
	s_load_dwordx4 s[28:31], s[0:1], 0x78
	s_load_dwordx8 s[20:27], s[0:1], 0x58
	s_mov_b64 s[40:41], -1
                                        ; implicit-def: $sgpr33
	s_waitcnt lgkmcnt(0)
	s_bitcmp1_b32 s36, 0
	s_cselect_b64 s[34:35], -1, 0
	s_xor_b64 s[34:35], s[34:35], -1
	s_and_b64 vcc, exec, s[34:35]
	s_cbranch_vccnz .LBB13_8
; %bb.1:
	s_andn2_b64 vcc, exec, s[40:41]
	s_cbranch_vccz .LBB13_9
.LBB13_2:
	s_andn2_b64 vcc, exec, s[34:35]
	s_cbranch_vccnz .LBB13_4
.LBB13_3:
	s_load_dword s22, s[22:23], 0x0
.LBB13_4:
	s_waitcnt lgkmcnt(0)
	v_cmp_eq_f32_e64 s[4:5], s33, 0
	v_cmp_eq_f32_e64 s[34:35], s22, 1.0
	s_and_b64 s[4:5], s[4:5], s[34:35]
	s_and_b64 vcc, exec, s[4:5]
	s_cbranch_vccnz .LBB13_22
; %bb.5:
	s_load_dword s4, s[0:1], 0x10
	v_bfe_u32 v1, v0, 10, 10
	v_lshl_add_u32 v6, s2, 4, v1
	v_cmp_gt_i32_e32 vcc, s37, v6
	s_and_saveexec_b64 s[0:1], vcc
	s_cbranch_execz .LBB13_22
; %bb.6:
	v_cmp_neq_f32_e64 s[0:1], s33, 0
	s_and_b64 vcc, exec, s[0:1]
	s_cbranch_vccnz .LBB13_10
; %bb.7:
	v_and_b32_e32 v7, 0x3ff, v0
	v_mov_b32_e32 v2, 0
	s_cbranch_execz .LBB13_11
	s_branch .LBB13_18
.LBB13_8:
	s_load_dword s33, s[4:5], 0x0
	s_cbranch_execnz .LBB13_2
.LBB13_9:
	s_waitcnt lgkmcnt(0)
	s_mov_b32 s33, s4
	s_andn2_b64 vcc, exec, s[34:35]
	s_cbranch_vccz .LBB13_3
	s_branch .LBB13_4
.LBB13_10:
                                        ; implicit-def: $vgpr7
	v_mov_b32_e32 v2, 0
.LBB13_11:
	v_and_b32_e32 v7, 0x3ff, v0
	v_min_i32_e32 v1, s39, v6
	s_waitcnt lgkmcnt(0)
	v_sub_u32_e32 v0, s4, v7
	v_add_u32_e32 v0, v0, v1
	v_cmp_lt_i32_e32 vcc, -1, v0
	v_mov_b32_e32 v1, 0
	s_and_saveexec_b64 s[0:1], vcc
	s_cbranch_execz .LBB13_17
; %bb.12:
	v_subrev_u32_e32 v1, s39, v6
	v_max_i32_e32 v1, 0, v1
	v_add_u32_e32 v8, v1, v7
	v_mad_u64_u32 v[2:3], s[4:5], s18, v8, 0
	s_mul_i32 s2, s21, s3
	s_mul_hi_u32 s4, s20, s3
	s_add_i32 s5, s4, s2
	s_mul_i32 s4, s20, s3
	s_lshl_b64 s[4:5], s[4:5], 2
	s_lshl_b64 s[16:17], s[16:17], 2
	s_add_u32 s2, s14, s16
	v_ashrrev_i32_e32 v1, 31, v8
	s_addc_u32 s14, s15, s17
	v_mul_lo_u32 v4, s18, v1
	v_mul_lo_u32 v5, s19, v8
	s_add_u32 s4, s2, s4
	s_mul_i32 s2, s13, s3
	s_mul_hi_u32 s13, s12, s3
	v_add3_u32 v3, v3, v4, v5
	s_addc_u32 s5, s14, s5
	s_add_i32 s13, s13, s2
	s_mul_i32 s12, s12, s3
	v_lshl_add_u64 v[2:3], v[2:3], 2, s[4:5]
	s_lshl_b64 s[4:5], s[18:19], 8
	s_lshl_b64 s[12:13], s[12:13], 2
	s_lshl_b64 s[8:9], s[8:9], 2
	v_mul_lo_u32 v1, s10, v1
	v_mul_lo_u32 v9, s11, v8
	v_mad_u64_u32 v[4:5], s[14:15], s10, v8, 0
	s_add_u32 s8, s8, s12
	v_add3_u32 v5, v5, v1, v9
	s_addc_u32 s9, s9, s13
	v_lshl_add_u64 v[4:5], v[4:5], 2, s[8:9]
	v_mov_b32_e32 v1, 0
	v_lshl_add_u64 v[4:5], v[0:1], 2, v[4:5]
	v_lshl_add_u64 v[4:5], s[6:7], 0, v[4:5]
	s_lshl_b64 s[6:7], s[10:11], 8
	s_add_u32 s6, s6, 0xffffff00
	s_addc_u32 s7, s7, -1
	s_mov_b64 s[8:9], 0
	s_mov_b64 s[10:11], 0
	s_branch .LBB13_14
.LBB13_13:                              ;   in Loop: Header=BB13_14 Depth=1
	s_or_b64 exec, exec, s[12:13]
	s_add_u32 s10, s10, 0xffffffc0
	v_add3_u32 v9, v0, s10, 64
	s_addc_u32 s11, s11, -1
	v_cmp_gt_u32_e32 vcc, 64, v9
	v_add_u32_e32 v8, 64, v8
	v_lshl_add_u64 v[2:3], v[2:3], 0, s[4:5]
	s_or_b64 s[8:9], vcc, s[8:9]
	v_lshl_add_u64 v[4:5], v[4:5], 0, s[6:7]
	s_andn2_b64 exec, exec, s[8:9]
	s_cbranch_execz .LBB13_16
.LBB13_14:                              ; =>This Inner Loop Header: Depth=1
	v_cmp_gt_i32_e32 vcc, s38, v8
	s_and_saveexec_b64 s[12:13], vcc
	s_cbranch_execz .LBB13_13
; %bb.15:                               ;   in Loop: Header=BB13_14 Depth=1
	global_load_dword v9, v[4:5], off
	global_load_dword v10, v[2:3], off
	s_waitcnt vmcnt(0)
	v_fmac_f32_e32 v1, v9, v10
	s_branch .LBB13_13
.LBB13_16:
	s_or_b64 exec, exec, s[8:9]
.LBB13_17:
	s_or_b64 exec, exec, s[0:1]
	v_mbcnt_lo_u32_b32 v0, -1, 0
	v_mbcnt_hi_u32_b32 v0, -1, v0
	v_mov_b32_e32 v2, 0x80
	v_lshl_or_b32 v2, v0, 2, v2
	ds_bpermute_b32 v2, v2, v1
	v_and_b32_e32 v3, 63, v0
	v_cmp_gt_u32_e32 vcc, 48, v3
	s_waitcnt lgkmcnt(0)
	s_barrier
	v_cndmask_b32_e64 v4, 0, 16, vcc
	v_add_f32_e32 v1, v1, v2
	v_add_lshl_u32 v2, v4, v0, 2
	ds_bpermute_b32 v2, v2, v1
	v_cmp_gt_u32_e32 vcc, 56, v3
	s_waitcnt lgkmcnt(0)
	v_add_f32_e32 v1, v1, v2
	v_cndmask_b32_e64 v4, 0, 8, vcc
	v_add_lshl_u32 v4, v4, v0, 2
	ds_bpermute_b32 v2, v4, v1
	v_cmp_gt_u32_e32 vcc, 60, v3
	s_waitcnt lgkmcnt(0)
	v_add_f32_e32 v1, v1, v2
	v_cndmask_b32_e64 v4, 0, 4, vcc
	;; [unrolled: 6-line block ×3, first 2 shown]
	v_add_lshl_u32 v4, v4, v0, 2
	ds_bpermute_b32 v2, v4, v1
	v_cmp_ne_u32_e32 vcc, 63, v3
	s_waitcnt lgkmcnt(0)
	v_add_f32_e32 v1, v1, v2
	v_addc_co_u32_e32 v0, vcc, 0, v0, vcc
	v_lshlrev_b32_e32 v0, 2, v0
	ds_bpermute_b32 v0, v0, v1
	s_waitcnt lgkmcnt(0)
	v_add_f32_e32 v0, v1, v0
	v_mul_f32_e32 v2, s33, v0
.LBB13_18:
	v_cmp_eq_u32_e32 vcc, 0, v7
	s_and_b64 exec, exec, vcc
	s_cbranch_execz .LBB13_22
; %bb.19:
	s_mul_i32 s0, s31, s3
	s_mul_hi_u32 s1, s30, s3
	s_add_i32 s1, s1, s0
	s_mul_i32 s0, s30, s3
	s_lshl_b64 s[0:1], s[0:1], 2
	s_add_u32 s2, s24, s0
	s_addc_u32 s3, s25, s1
	s_lshl_b64 s[0:1], s[26:27], 2
	v_ashrrev_i32_e32 v0, 31, v6
	s_add_u32 s0, s2, s0
	v_mul_lo_u32 v3, s29, v6
	v_mul_lo_u32 v4, s28, v0
	s_waitcnt lgkmcnt(0)
	v_mad_u64_u32 v[0:1], s[4:5], s28, v6, 0
	s_addc_u32 s1, s3, s1
	v_cmp_eq_f32_e64 s[2:3], s22, 0
	v_add3_u32 v1, v1, v4, v3
	v_lshl_add_u64 v[0:1], v[0:1], 2, s[0:1]
	s_and_b64 vcc, exec, s[2:3]
	s_cbranch_vccnz .LBB13_21
; %bb.20:
	global_load_dword v3, v[0:1], off
	s_waitcnt vmcnt(0)
	v_fmac_f32_e32 v2, s22, v3
.LBB13_21:
	global_store_dword v[0:1], v2, off
.LBB13_22:
	s_endpgm
	.section	.rodata,"a",@progbits
	.p2align	6, 0x0
	.amdhsa_kernel _ZL20rocblas_gbmvn_kernelILi64ELi16E24rocblas_internal_val_ptrIfEPKfPfEvbiiiiT1_T2_lllS6_lllS5_T3_llli
		.amdhsa_group_segment_fixed_size 0
		.amdhsa_private_segment_fixed_size 0
		.amdhsa_kernarg_size 140
		.amdhsa_user_sgpr_count 2
		.amdhsa_user_sgpr_dispatch_ptr 0
		.amdhsa_user_sgpr_queue_ptr 0
		.amdhsa_user_sgpr_kernarg_segment_ptr 1
		.amdhsa_user_sgpr_dispatch_id 0
		.amdhsa_user_sgpr_kernarg_preload_length 0
		.amdhsa_user_sgpr_kernarg_preload_offset 0
		.amdhsa_user_sgpr_private_segment_size 0
		.amdhsa_uses_dynamic_stack 0
		.amdhsa_enable_private_segment 0
		.amdhsa_system_sgpr_workgroup_id_x 1
		.amdhsa_system_sgpr_workgroup_id_y 0
		.amdhsa_system_sgpr_workgroup_id_z 1
		.amdhsa_system_sgpr_workgroup_info 0
		.amdhsa_system_vgpr_workitem_id 1
		.amdhsa_next_free_vgpr 11
		.amdhsa_next_free_sgpr 42
		.amdhsa_accum_offset 12
		.amdhsa_reserve_vcc 1
		.amdhsa_float_round_mode_32 0
		.amdhsa_float_round_mode_16_64 0
		.amdhsa_float_denorm_mode_32 3
		.amdhsa_float_denorm_mode_16_64 3
		.amdhsa_dx10_clamp 1
		.amdhsa_ieee_mode 1
		.amdhsa_fp16_overflow 0
		.amdhsa_tg_split 0
		.amdhsa_exception_fp_ieee_invalid_op 0
		.amdhsa_exception_fp_denorm_src 0
		.amdhsa_exception_fp_ieee_div_zero 0
		.amdhsa_exception_fp_ieee_overflow 0
		.amdhsa_exception_fp_ieee_underflow 0
		.amdhsa_exception_fp_ieee_inexact 0
		.amdhsa_exception_int_div_zero 0
	.end_amdhsa_kernel
	.section	.text._ZL20rocblas_gbmvn_kernelILi64ELi16E24rocblas_internal_val_ptrIfEPKfPfEvbiiiiT1_T2_lllS6_lllS5_T3_llli,"axG",@progbits,_ZL20rocblas_gbmvn_kernelILi64ELi16E24rocblas_internal_val_ptrIfEPKfPfEvbiiiiT1_T2_lllS6_lllS5_T3_llli,comdat
.Lfunc_end13:
	.size	_ZL20rocblas_gbmvn_kernelILi64ELi16E24rocblas_internal_val_ptrIfEPKfPfEvbiiiiT1_T2_lllS6_lllS5_T3_llli, .Lfunc_end13-_ZL20rocblas_gbmvn_kernelILi64ELi16E24rocblas_internal_val_ptrIfEPKfPfEvbiiiiT1_T2_lllS6_lllS5_T3_llli
                                        ; -- End function
	.set _ZL20rocblas_gbmvn_kernelILi64ELi16E24rocblas_internal_val_ptrIfEPKfPfEvbiiiiT1_T2_lllS6_lllS5_T3_llli.num_vgpr, 11
	.set _ZL20rocblas_gbmvn_kernelILi64ELi16E24rocblas_internal_val_ptrIfEPKfPfEvbiiiiT1_T2_lllS6_lllS5_T3_llli.num_agpr, 0
	.set _ZL20rocblas_gbmvn_kernelILi64ELi16E24rocblas_internal_val_ptrIfEPKfPfEvbiiiiT1_T2_lllS6_lllS5_T3_llli.numbered_sgpr, 42
	.set _ZL20rocblas_gbmvn_kernelILi64ELi16E24rocblas_internal_val_ptrIfEPKfPfEvbiiiiT1_T2_lllS6_lllS5_T3_llli.num_named_barrier, 0
	.set _ZL20rocblas_gbmvn_kernelILi64ELi16E24rocblas_internal_val_ptrIfEPKfPfEvbiiiiT1_T2_lllS6_lllS5_T3_llli.private_seg_size, 0
	.set _ZL20rocblas_gbmvn_kernelILi64ELi16E24rocblas_internal_val_ptrIfEPKfPfEvbiiiiT1_T2_lllS6_lllS5_T3_llli.uses_vcc, 1
	.set _ZL20rocblas_gbmvn_kernelILi64ELi16E24rocblas_internal_val_ptrIfEPKfPfEvbiiiiT1_T2_lllS6_lllS5_T3_llli.uses_flat_scratch, 0
	.set _ZL20rocblas_gbmvn_kernelILi64ELi16E24rocblas_internal_val_ptrIfEPKfPfEvbiiiiT1_T2_lllS6_lllS5_T3_llli.has_dyn_sized_stack, 0
	.set _ZL20rocblas_gbmvn_kernelILi64ELi16E24rocblas_internal_val_ptrIfEPKfPfEvbiiiiT1_T2_lllS6_lllS5_T3_llli.has_recursion, 0
	.set _ZL20rocblas_gbmvn_kernelILi64ELi16E24rocblas_internal_val_ptrIfEPKfPfEvbiiiiT1_T2_lllS6_lllS5_T3_llli.has_indirect_call, 0
	.section	.AMDGPU.csdata,"",@progbits
; Kernel info:
; codeLenInByte = 968
; TotalNumSgprs: 48
; NumVgprs: 11
; NumAgprs: 0
; TotalNumVgprs: 11
; ScratchSize: 0
; MemoryBound: 0
; FloatMode: 240
; IeeeMode: 1
; LDSByteSize: 0 bytes/workgroup (compile time only)
; SGPRBlocks: 5
; VGPRBlocks: 1
; NumSGPRsForWavesPerEU: 48
; NumVGPRsForWavesPerEU: 11
; AccumOffset: 12
; Occupancy: 8
; WaveLimiterHint : 0
; COMPUTE_PGM_RSRC2:SCRATCH_EN: 0
; COMPUTE_PGM_RSRC2:USER_SGPR: 2
; COMPUTE_PGM_RSRC2:TRAP_HANDLER: 0
; COMPUTE_PGM_RSRC2:TGID_X_EN: 1
; COMPUTE_PGM_RSRC2:TGID_Y_EN: 0
; COMPUTE_PGM_RSRC2:TGID_Z_EN: 1
; COMPUTE_PGM_RSRC2:TIDIG_COMP_CNT: 1
; COMPUTE_PGM_RSRC3_GFX90A:ACCUM_OFFSET: 2
; COMPUTE_PGM_RSRC3_GFX90A:TG_SPLIT: 0
	.section	.text._ZL20rocblas_gbmvt_kernelILi32ELi32E24rocblas_internal_val_ptrIfEPKfPfEvb18rocblas_operation_iiiiT1_T2_lllS7_lllS6_T3_llli,"axG",@progbits,_ZL20rocblas_gbmvt_kernelILi32ELi32E24rocblas_internal_val_ptrIfEPKfPfEvb18rocblas_operation_iiiiT1_T2_lllS7_lllS6_T3_llli,comdat
	.globl	_ZL20rocblas_gbmvt_kernelILi32ELi32E24rocblas_internal_val_ptrIfEPKfPfEvb18rocblas_operation_iiiiT1_T2_lllS7_lllS6_T3_llli ; -- Begin function _ZL20rocblas_gbmvt_kernelILi32ELi32E24rocblas_internal_val_ptrIfEPKfPfEvb18rocblas_operation_iiiiT1_T2_lllS7_lllS6_T3_llli
	.p2align	8
	.type	_ZL20rocblas_gbmvt_kernelILi32ELi32E24rocblas_internal_val_ptrIfEPKfPfEvb18rocblas_operation_iiiiT1_T2_lllS7_lllS6_T3_llli,@function
_ZL20rocblas_gbmvt_kernelILi32ELi32E24rocblas_internal_val_ptrIfEPKfPfEvb18rocblas_operation_iiiiT1_T2_lllS7_lllS6_T3_llli: ; @_ZL20rocblas_gbmvt_kernelILi32ELi32E24rocblas_internal_val_ptrIfEPKfPfEvb18rocblas_operation_iiiiT1_T2_lllS7_lllS6_T3_llli
; %bb.0:
	s_load_dword s20, s[0:1], 0x0
	s_load_dwordx16 s[4:19], s[0:1], 0x18
	s_mov_b64 s[36:37], -1
                                        ; implicit-def: $sgpr33
	s_waitcnt lgkmcnt(0)
	s_bitcmp1_b32 s20, 0
	s_load_dwordx4 s[28:31], s[0:1], 0x78
	s_load_dwordx8 s[20:27], s[0:1], 0x58
	s_cselect_b64 s[34:35], -1, 0
	s_xor_b64 s[34:35], s[34:35], -1
	s_and_b64 vcc, exec, s[34:35]
	s_cbranch_vccnz .LBB14_14
; %bb.1:
	s_andn2_b64 vcc, exec, s[36:37]
	s_cbranch_vccz .LBB14_15
.LBB14_2:
	s_andn2_b64 vcc, exec, s[34:35]
	s_cbranch_vccnz .LBB14_4
.LBB14_3:
	s_waitcnt lgkmcnt(0)
	s_load_dword s22, s[22:23], 0x0
.LBB14_4:
	s_waitcnt lgkmcnt(0)
	v_cmp_eq_f32_e64 s[4:5], s33, 0
	v_cmp_eq_f32_e64 s[34:35], s22, 1.0
	s_and_b64 s[34:35], s[4:5], s[34:35]
	s_and_b64 vcc, exec, s[34:35]
	s_cbranch_vccnz .LBB14_22
; %bb.5:
	s_load_dwordx4 s[36:39], s[0:1], 0x8
	v_bfe_u32 v1, v0, 10, 10
	v_lshl_add_u32 v6, s2, 5, v1
	s_waitcnt lgkmcnt(0)
	v_cmp_gt_i32_e32 vcc, s37, v6
	s_and_saveexec_b64 s[0:1], vcc
	s_cbranch_execz .LBB14_22
; %bb.6:
	v_mov_b32_e32 v2, 0
	v_and_b32_e32 v7, 0x3ff, v0
	s_and_b64 vcc, exec, s[4:5]
	s_cbranch_vccnz .LBB14_18
; %bb.7:
	s_add_i32 s2, s39, s38
	v_cmp_ge_i32_e32 vcc, s2, v7
	v_mov_b32_e32 v1, 0
	s_and_saveexec_b64 s[4:5], vcc
	s_cbranch_execz .LBB14_17
; %bb.8:
	v_mad_u64_u32 v[0:1], s[0:1], s10, v6, 0
	s_mul_i32 s0, s13, s3
	s_mul_hi_u32 s1, s12, s3
	s_add_i32 s1, s1, s0
	s_mul_i32 s0, s12, s3
	v_ashrrev_i32_e32 v4, 31, v6
	s_lshl_b64 s[0:1], s[0:1], 2
	s_lshl_b64 s[8:9], s[8:9], 2
	v_mul_lo_u32 v2, s11, v6
	v_mul_lo_u32 v3, s10, v4
	s_add_u32 s0, s8, s0
	v_add3_u32 v1, v1, v3, v2
	s_addc_u32 s1, s9, s1
	v_lshl_add_u64 v[2:3], v[0:1], 2, s[0:1]
	v_lshlrev_b32_e32 v0, 2, v7
	v_mov_b32_e32 v1, 0
	v_lshl_add_u64 v[2:3], v[2:3], 0, v[0:1]
	v_sub_u32_e32 v0, s39, v7
	v_ashrrev_i32_e32 v5, 31, v0
	v_sub_co_u32_e32 v8, vcc, v6, v0
	v_lshl_add_u64 v[2:3], s[6:7], 0, v[2:3]
	s_nop 0
	v_subb_co_u32_e32 v4, vcc, v4, v5, vcc
	v_mul_lo_u32 v10, s18, v4
	v_mad_u64_u32 v[4:5], s[0:1], s18, v8, 0
	s_mul_i32 s0, s21, s3
	s_mul_hi_u32 s1, s20, s3
	s_add_i32 s1, s1, s0
	s_mul_i32 s0, s20, s3
	s_lshl_b64 s[0:1], s[0:1], 2
	s_lshl_b64 s[6:7], s[16:17], 2
	s_add_u32 s6, s14, s6
	s_addc_u32 s7, s15, s7
	v_mul_lo_u32 v9, s19, v8
	s_add_u32 s0, s6, s0
	v_add3_u32 v5, v5, v10, v9
	s_addc_u32 s1, s7, s1
	v_lshl_add_u64 v[4:5], v[4:5], 2, s[0:1]
	s_lshl_b64 s[8:9], s[18:19], 7
	s_mov_b64 s[6:7], 0
	s_mov_b64 s[10:11], 0x80
	v_mov_b32_e32 v8, v7
	s_branch .LBB14_11
.LBB14_9:                               ;   in Loop: Header=BB14_11 Depth=1
	s_or_b64 exec, exec, s[0:1]
.LBB14_10:                              ;   in Loop: Header=BB14_11 Depth=1
	s_or_b64 exec, exec, s[12:13]
	v_add_u32_e32 v8, 32, v8
	v_cmp_lt_i32_e32 vcc, s2, v8
	v_lshl_add_u64 v[2:3], v[2:3], 0, s[10:11]
	v_lshl_add_u64 v[4:5], v[4:5], 0, s[8:9]
	s_or_b64 s[6:7], vcc, s[6:7]
	v_subrev_u32_e32 v0, 32, v0
	s_andn2_b64 exec, exec, s[6:7]
	s_cbranch_execz .LBB14_16
.LBB14_11:                              ; =>This Inner Loop Header: Depth=1
	v_add_u32_e32 v9, s36, v0
	v_cmp_lt_i32_e32 vcc, v6, v9
	s_and_saveexec_b64 s[12:13], vcc
	s_cbranch_execz .LBB14_10
; %bb.12:                               ;   in Loop: Header=BB14_11 Depth=1
	v_cmp_lt_i32_e32 vcc, s39, v8
	v_cmp_ge_i32_e64 s[0:1], v6, v0
	s_or_b64 s[14:15], vcc, s[0:1]
	s_and_saveexec_b64 s[0:1], s[14:15]
	s_cbranch_execz .LBB14_9
; %bb.13:                               ;   in Loop: Header=BB14_11 Depth=1
	global_load_dword v9, v[2:3], off
	global_load_dword v10, v[4:5], off
	s_waitcnt vmcnt(0)
	v_fmac_f32_e32 v1, v9, v10
	s_branch .LBB14_9
.LBB14_14:
	s_load_dword s33, s[4:5], 0x0
	s_cbranch_execnz .LBB14_2
.LBB14_15:
	s_waitcnt lgkmcnt(0)
	s_mov_b32 s33, s4
	s_andn2_b64 vcc, exec, s[34:35]
	s_cbranch_vccz .LBB14_3
	s_branch .LBB14_4
.LBB14_16:
	s_or_b64 exec, exec, s[6:7]
.LBB14_17:
	s_or_b64 exec, exec, s[4:5]
	v_mbcnt_lo_u32_b32 v0, -1, 0
	v_mbcnt_hi_u32_b32 v0, -1, v0
	v_and_b32_e32 v2, 63, v0
	v_cmp_gt_u32_e32 vcc, 48, v2
	s_barrier
	s_nop 0
	v_cndmask_b32_e64 v3, 0, 16, vcc
	v_add_lshl_u32 v3, v3, v0, 2
	ds_bpermute_b32 v3, v3, v1
	v_cmp_gt_u32_e32 vcc, 56, v2
	s_waitcnt lgkmcnt(0)
	v_add_f32_e32 v1, v1, v3
	v_cndmask_b32_e64 v4, 0, 8, vcc
	v_add_lshl_u32 v4, v4, v0, 2
	ds_bpermute_b32 v3, v4, v1
	v_cmp_gt_u32_e32 vcc, 60, v2
	s_waitcnt lgkmcnt(0)
	v_add_f32_e32 v1, v1, v3
	;; [unrolled: 6-line block ×3, first 2 shown]
	v_cndmask_b32_e64 v4, 0, 2, vcc
	v_add_lshl_u32 v4, v4, v0, 2
	ds_bpermute_b32 v3, v4, v1
	v_cmp_ne_u32_e32 vcc, 63, v2
	s_waitcnt lgkmcnt(0)
	v_add_f32_e32 v1, v1, v3
	v_addc_co_u32_e32 v0, vcc, 0, v0, vcc
	v_lshlrev_b32_e32 v0, 2, v0
	ds_bpermute_b32 v0, v0, v1
	s_waitcnt lgkmcnt(0)
	v_add_f32_e32 v0, v1, v0
	v_mul_f32_e32 v2, s33, v0
.LBB14_18:
	v_cmp_eq_u32_e32 vcc, 0, v7
	s_and_b64 exec, exec, vcc
	s_cbranch_execz .LBB14_22
; %bb.19:
	s_mul_i32 s0, s31, s3
	s_mul_hi_u32 s1, s30, s3
	s_add_i32 s1, s1, s0
	s_mul_i32 s0, s30, s3
	s_lshl_b64 s[0:1], s[0:1], 2
	s_add_u32 s2, s24, s0
	s_addc_u32 s3, s25, s1
	s_lshl_b64 s[0:1], s[26:27], 2
	v_ashrrev_i32_e32 v0, 31, v6
	s_add_u32 s0, s2, s0
	v_mul_lo_u32 v3, s29, v6
	v_mul_lo_u32 v4, s28, v0
	v_mad_u64_u32 v[0:1], s[4:5], s28, v6, 0
	s_addc_u32 s1, s3, s1
	v_cmp_eq_f32_e64 s[2:3], s22, 0
	v_add3_u32 v1, v1, v4, v3
	v_lshl_add_u64 v[0:1], v[0:1], 2, s[0:1]
	s_and_b64 vcc, exec, s[2:3]
	s_cbranch_vccnz .LBB14_21
; %bb.20:
	global_load_dword v3, v[0:1], off
	s_waitcnt vmcnt(0)
	v_fmac_f32_e32 v2, s22, v3
.LBB14_21:
	global_store_dword v[0:1], v2, off
.LBB14_22:
	s_endpgm
	.section	.rodata,"a",@progbits
	.p2align	6, 0x0
	.amdhsa_kernel _ZL20rocblas_gbmvt_kernelILi32ELi32E24rocblas_internal_val_ptrIfEPKfPfEvb18rocblas_operation_iiiiT1_T2_lllS7_lllS6_T3_llli
		.amdhsa_group_segment_fixed_size 0
		.amdhsa_private_segment_fixed_size 0
		.amdhsa_kernarg_size 140
		.amdhsa_user_sgpr_count 2
		.amdhsa_user_sgpr_dispatch_ptr 0
		.amdhsa_user_sgpr_queue_ptr 0
		.amdhsa_user_sgpr_kernarg_segment_ptr 1
		.amdhsa_user_sgpr_dispatch_id 0
		.amdhsa_user_sgpr_kernarg_preload_length 0
		.amdhsa_user_sgpr_kernarg_preload_offset 0
		.amdhsa_user_sgpr_private_segment_size 0
		.amdhsa_uses_dynamic_stack 0
		.amdhsa_enable_private_segment 0
		.amdhsa_system_sgpr_workgroup_id_x 1
		.amdhsa_system_sgpr_workgroup_id_y 0
		.amdhsa_system_sgpr_workgroup_id_z 1
		.amdhsa_system_sgpr_workgroup_info 0
		.amdhsa_system_vgpr_workitem_id 1
		.amdhsa_next_free_vgpr 11
		.amdhsa_next_free_sgpr 40
		.amdhsa_accum_offset 12
		.amdhsa_reserve_vcc 1
		.amdhsa_float_round_mode_32 0
		.amdhsa_float_round_mode_16_64 0
		.amdhsa_float_denorm_mode_32 3
		.amdhsa_float_denorm_mode_16_64 3
		.amdhsa_dx10_clamp 1
		.amdhsa_ieee_mode 1
		.amdhsa_fp16_overflow 0
		.amdhsa_tg_split 0
		.amdhsa_exception_fp_ieee_invalid_op 0
		.amdhsa_exception_fp_denorm_src 0
		.amdhsa_exception_fp_ieee_div_zero 0
		.amdhsa_exception_fp_ieee_overflow 0
		.amdhsa_exception_fp_ieee_underflow 0
		.amdhsa_exception_fp_ieee_inexact 0
		.amdhsa_exception_int_div_zero 0
	.end_amdhsa_kernel
	.section	.text._ZL20rocblas_gbmvt_kernelILi32ELi32E24rocblas_internal_val_ptrIfEPKfPfEvb18rocblas_operation_iiiiT1_T2_lllS7_lllS6_T3_llli,"axG",@progbits,_ZL20rocblas_gbmvt_kernelILi32ELi32E24rocblas_internal_val_ptrIfEPKfPfEvb18rocblas_operation_iiiiT1_T2_lllS7_lllS6_T3_llli,comdat
.Lfunc_end14:
	.size	_ZL20rocblas_gbmvt_kernelILi32ELi32E24rocblas_internal_val_ptrIfEPKfPfEvb18rocblas_operation_iiiiT1_T2_lllS7_lllS6_T3_llli, .Lfunc_end14-_ZL20rocblas_gbmvt_kernelILi32ELi32E24rocblas_internal_val_ptrIfEPKfPfEvb18rocblas_operation_iiiiT1_T2_lllS7_lllS6_T3_llli
                                        ; -- End function
	.set _ZL20rocblas_gbmvt_kernelILi32ELi32E24rocblas_internal_val_ptrIfEPKfPfEvb18rocblas_operation_iiiiT1_T2_lllS7_lllS6_T3_llli.num_vgpr, 11
	.set _ZL20rocblas_gbmvt_kernelILi32ELi32E24rocblas_internal_val_ptrIfEPKfPfEvb18rocblas_operation_iiiiT1_T2_lllS7_lllS6_T3_llli.num_agpr, 0
	.set _ZL20rocblas_gbmvt_kernelILi32ELi32E24rocblas_internal_val_ptrIfEPKfPfEvb18rocblas_operation_iiiiT1_T2_lllS7_lllS6_T3_llli.numbered_sgpr, 40
	.set _ZL20rocblas_gbmvt_kernelILi32ELi32E24rocblas_internal_val_ptrIfEPKfPfEvb18rocblas_operation_iiiiT1_T2_lllS7_lllS6_T3_llli.num_named_barrier, 0
	.set _ZL20rocblas_gbmvt_kernelILi32ELi32E24rocblas_internal_val_ptrIfEPKfPfEvb18rocblas_operation_iiiiT1_T2_lllS7_lllS6_T3_llli.private_seg_size, 0
	.set _ZL20rocblas_gbmvt_kernelILi32ELi32E24rocblas_internal_val_ptrIfEPKfPfEvb18rocblas_operation_iiiiT1_T2_lllS7_lllS6_T3_llli.uses_vcc, 1
	.set _ZL20rocblas_gbmvt_kernelILi32ELi32E24rocblas_internal_val_ptrIfEPKfPfEvb18rocblas_operation_iiiiT1_T2_lllS7_lllS6_T3_llli.uses_flat_scratch, 0
	.set _ZL20rocblas_gbmvt_kernelILi32ELi32E24rocblas_internal_val_ptrIfEPKfPfEvb18rocblas_operation_iiiiT1_T2_lllS7_lllS6_T3_llli.has_dyn_sized_stack, 0
	.set _ZL20rocblas_gbmvt_kernelILi32ELi32E24rocblas_internal_val_ptrIfEPKfPfEvb18rocblas_operation_iiiiT1_T2_lllS7_lllS6_T3_llli.has_recursion, 0
	.set _ZL20rocblas_gbmvt_kernelILi32ELi32E24rocblas_internal_val_ptrIfEPKfPfEvb18rocblas_operation_iiiiT1_T2_lllS7_lllS6_T3_llli.has_indirect_call, 0
	.section	.AMDGPU.csdata,"",@progbits
; Kernel info:
; codeLenInByte = 924
; TotalNumSgprs: 46
; NumVgprs: 11
; NumAgprs: 0
; TotalNumVgprs: 11
; ScratchSize: 0
; MemoryBound: 0
; FloatMode: 240
; IeeeMode: 1
; LDSByteSize: 0 bytes/workgroup (compile time only)
; SGPRBlocks: 5
; VGPRBlocks: 1
; NumSGPRsForWavesPerEU: 46
; NumVGPRsForWavesPerEU: 11
; AccumOffset: 12
; Occupancy: 8
; WaveLimiterHint : 0
; COMPUTE_PGM_RSRC2:SCRATCH_EN: 0
; COMPUTE_PGM_RSRC2:USER_SGPR: 2
; COMPUTE_PGM_RSRC2:TRAP_HANDLER: 0
; COMPUTE_PGM_RSRC2:TGID_X_EN: 1
; COMPUTE_PGM_RSRC2:TGID_Y_EN: 0
; COMPUTE_PGM_RSRC2:TGID_Z_EN: 1
; COMPUTE_PGM_RSRC2:TIDIG_COMP_CNT: 1
; COMPUTE_PGM_RSRC3_GFX90A:ACCUM_OFFSET: 2
; COMPUTE_PGM_RSRC3_GFX90A:TG_SPLIT: 0
	.section	.text._ZL20rocblas_gbmvt_kernelILi64ELi16E24rocblas_internal_val_ptrIfEPKfPfEvb18rocblas_operation_iiiiT1_T2_lllS7_lllS6_T3_llli,"axG",@progbits,_ZL20rocblas_gbmvt_kernelILi64ELi16E24rocblas_internal_val_ptrIfEPKfPfEvb18rocblas_operation_iiiiT1_T2_lllS7_lllS6_T3_llli,comdat
	.globl	_ZL20rocblas_gbmvt_kernelILi64ELi16E24rocblas_internal_val_ptrIfEPKfPfEvb18rocblas_operation_iiiiT1_T2_lllS7_lllS6_T3_llli ; -- Begin function _ZL20rocblas_gbmvt_kernelILi64ELi16E24rocblas_internal_val_ptrIfEPKfPfEvb18rocblas_operation_iiiiT1_T2_lllS7_lllS6_T3_llli
	.p2align	8
	.type	_ZL20rocblas_gbmvt_kernelILi64ELi16E24rocblas_internal_val_ptrIfEPKfPfEvb18rocblas_operation_iiiiT1_T2_lllS7_lllS6_T3_llli,@function
_ZL20rocblas_gbmvt_kernelILi64ELi16E24rocblas_internal_val_ptrIfEPKfPfEvb18rocblas_operation_iiiiT1_T2_lllS7_lllS6_T3_llli: ; @_ZL20rocblas_gbmvt_kernelILi64ELi16E24rocblas_internal_val_ptrIfEPKfPfEvb18rocblas_operation_iiiiT1_T2_lllS7_lllS6_T3_llli
; %bb.0:
	s_load_dword s20, s[0:1], 0x0
	s_load_dwordx16 s[4:19], s[0:1], 0x18
	s_mov_b64 s[36:37], -1
                                        ; implicit-def: $sgpr33
	s_waitcnt lgkmcnt(0)
	s_bitcmp1_b32 s20, 0
	s_load_dwordx4 s[28:31], s[0:1], 0x78
	s_load_dwordx8 s[20:27], s[0:1], 0x58
	s_cselect_b64 s[34:35], -1, 0
	s_xor_b64 s[34:35], s[34:35], -1
	s_and_b64 vcc, exec, s[34:35]
	s_cbranch_vccnz .LBB15_14
; %bb.1:
	s_andn2_b64 vcc, exec, s[36:37]
	s_cbranch_vccz .LBB15_15
.LBB15_2:
	s_andn2_b64 vcc, exec, s[34:35]
	s_cbranch_vccnz .LBB15_4
.LBB15_3:
	s_waitcnt lgkmcnt(0)
	s_load_dword s22, s[22:23], 0x0
.LBB15_4:
	s_waitcnt lgkmcnt(0)
	v_cmp_eq_f32_e64 s[4:5], s33, 0
	v_cmp_eq_f32_e64 s[34:35], s22, 1.0
	s_and_b64 s[34:35], s[4:5], s[34:35]
	s_and_b64 vcc, exec, s[34:35]
	s_cbranch_vccnz .LBB15_22
; %bb.5:
	s_load_dwordx4 s[36:39], s[0:1], 0x8
	v_bfe_u32 v1, v0, 10, 10
	v_lshl_add_u32 v6, s2, 4, v1
	s_waitcnt lgkmcnt(0)
	v_cmp_gt_i32_e32 vcc, s37, v6
	s_and_saveexec_b64 s[0:1], vcc
	s_cbranch_execz .LBB15_22
; %bb.6:
	v_mov_b32_e32 v2, 0
	v_and_b32_e32 v7, 0x3ff, v0
	s_and_b64 vcc, exec, s[4:5]
	s_cbranch_vccnz .LBB15_18
; %bb.7:
	s_add_i32 s2, s39, s38
	v_cmp_ge_i32_e32 vcc, s2, v7
	v_mov_b32_e32 v1, 0
	s_and_saveexec_b64 s[4:5], vcc
	s_cbranch_execz .LBB15_17
; %bb.8:
	v_mad_u64_u32 v[0:1], s[0:1], s10, v6, 0
	s_mul_i32 s0, s13, s3
	s_mul_hi_u32 s1, s12, s3
	s_add_i32 s1, s1, s0
	s_mul_i32 s0, s12, s3
	v_ashrrev_i32_e32 v4, 31, v6
	s_lshl_b64 s[0:1], s[0:1], 2
	s_lshl_b64 s[8:9], s[8:9], 2
	v_mul_lo_u32 v2, s11, v6
	v_mul_lo_u32 v3, s10, v4
	s_add_u32 s0, s8, s0
	v_add3_u32 v1, v1, v3, v2
	s_addc_u32 s1, s9, s1
	v_lshl_add_u64 v[2:3], v[0:1], 2, s[0:1]
	v_lshlrev_b32_e32 v0, 2, v7
	v_mov_b32_e32 v1, 0
	v_lshl_add_u64 v[2:3], v[2:3], 0, v[0:1]
	v_sub_u32_e32 v0, s39, v7
	v_ashrrev_i32_e32 v5, 31, v0
	v_sub_co_u32_e32 v8, vcc, v6, v0
	v_lshl_add_u64 v[2:3], s[6:7], 0, v[2:3]
	s_nop 0
	v_subb_co_u32_e32 v4, vcc, v4, v5, vcc
	v_mul_lo_u32 v10, s18, v4
	v_mad_u64_u32 v[4:5], s[0:1], s18, v8, 0
	s_mul_i32 s0, s21, s3
	s_mul_hi_u32 s1, s20, s3
	s_add_i32 s1, s1, s0
	s_mul_i32 s0, s20, s3
	s_lshl_b64 s[0:1], s[0:1], 2
	s_lshl_b64 s[6:7], s[16:17], 2
	s_add_u32 s6, s14, s6
	s_addc_u32 s7, s15, s7
	v_mul_lo_u32 v9, s19, v8
	s_add_u32 s0, s6, s0
	v_add3_u32 v5, v5, v10, v9
	s_addc_u32 s1, s7, s1
	v_lshl_add_u64 v[4:5], v[4:5], 2, s[0:1]
	s_lshl_b64 s[8:9], s[18:19], 8
	s_mov_b64 s[6:7], 0
	s_mov_b64 s[10:11], 0x100
	v_mov_b32_e32 v8, v7
	s_branch .LBB15_11
.LBB15_9:                               ;   in Loop: Header=BB15_11 Depth=1
	s_or_b64 exec, exec, s[0:1]
.LBB15_10:                              ;   in Loop: Header=BB15_11 Depth=1
	s_or_b64 exec, exec, s[12:13]
	v_add_u32_e32 v8, 64, v8
	v_cmp_lt_i32_e32 vcc, s2, v8
	v_lshl_add_u64 v[2:3], v[2:3], 0, s[10:11]
	v_lshl_add_u64 v[4:5], v[4:5], 0, s[8:9]
	s_or_b64 s[6:7], vcc, s[6:7]
	v_subrev_u32_e32 v0, 64, v0
	s_andn2_b64 exec, exec, s[6:7]
	s_cbranch_execz .LBB15_16
.LBB15_11:                              ; =>This Inner Loop Header: Depth=1
	v_add_u32_e32 v9, s36, v0
	v_cmp_lt_i32_e32 vcc, v6, v9
	s_and_saveexec_b64 s[12:13], vcc
	s_cbranch_execz .LBB15_10
; %bb.12:                               ;   in Loop: Header=BB15_11 Depth=1
	v_cmp_lt_i32_e32 vcc, s39, v8
	v_cmp_ge_i32_e64 s[0:1], v6, v0
	s_or_b64 s[14:15], vcc, s[0:1]
	s_and_saveexec_b64 s[0:1], s[14:15]
	s_cbranch_execz .LBB15_9
; %bb.13:                               ;   in Loop: Header=BB15_11 Depth=1
	global_load_dword v9, v[2:3], off
	global_load_dword v10, v[4:5], off
	s_waitcnt vmcnt(0)
	v_fmac_f32_e32 v1, v9, v10
	s_branch .LBB15_9
.LBB15_14:
	s_load_dword s33, s[4:5], 0x0
	s_cbranch_execnz .LBB15_2
.LBB15_15:
	s_waitcnt lgkmcnt(0)
	s_mov_b32 s33, s4
	s_andn2_b64 vcc, exec, s[34:35]
	s_cbranch_vccz .LBB15_3
	s_branch .LBB15_4
.LBB15_16:
	s_or_b64 exec, exec, s[6:7]
.LBB15_17:
	s_or_b64 exec, exec, s[4:5]
	v_mbcnt_lo_u32_b32 v0, -1, 0
	v_mbcnt_hi_u32_b32 v0, -1, v0
	v_mov_b32_e32 v2, 0x80
	v_lshl_or_b32 v2, v0, 2, v2
	ds_bpermute_b32 v2, v2, v1
	v_and_b32_e32 v3, 63, v0
	v_cmp_gt_u32_e32 vcc, 48, v3
	s_waitcnt lgkmcnt(0)
	s_barrier
	v_cndmask_b32_e64 v4, 0, 16, vcc
	v_add_f32_e32 v1, v1, v2
	v_add_lshl_u32 v2, v4, v0, 2
	ds_bpermute_b32 v2, v2, v1
	v_cmp_gt_u32_e32 vcc, 56, v3
	s_waitcnt lgkmcnt(0)
	v_add_f32_e32 v1, v1, v2
	v_cndmask_b32_e64 v4, 0, 8, vcc
	v_add_lshl_u32 v4, v4, v0, 2
	ds_bpermute_b32 v2, v4, v1
	v_cmp_gt_u32_e32 vcc, 60, v3
	s_waitcnt lgkmcnt(0)
	v_add_f32_e32 v1, v1, v2
	v_cndmask_b32_e64 v4, 0, 4, vcc
	;; [unrolled: 6-line block ×3, first 2 shown]
	v_add_lshl_u32 v4, v4, v0, 2
	ds_bpermute_b32 v2, v4, v1
	v_cmp_ne_u32_e32 vcc, 63, v3
	s_waitcnt lgkmcnt(0)
	v_add_f32_e32 v1, v1, v2
	v_addc_co_u32_e32 v0, vcc, 0, v0, vcc
	v_lshlrev_b32_e32 v0, 2, v0
	ds_bpermute_b32 v0, v0, v1
	s_waitcnt lgkmcnt(0)
	v_add_f32_e32 v0, v1, v0
	v_mul_f32_e32 v2, s33, v0
.LBB15_18:
	v_cmp_eq_u32_e32 vcc, 0, v7
	s_and_b64 exec, exec, vcc
	s_cbranch_execz .LBB15_22
; %bb.19:
	s_mul_i32 s0, s31, s3
	s_mul_hi_u32 s1, s30, s3
	s_add_i32 s1, s1, s0
	s_mul_i32 s0, s30, s3
	s_lshl_b64 s[0:1], s[0:1], 2
	s_add_u32 s2, s24, s0
	s_addc_u32 s3, s25, s1
	s_lshl_b64 s[0:1], s[26:27], 2
	v_ashrrev_i32_e32 v0, 31, v6
	s_add_u32 s0, s2, s0
	v_mul_lo_u32 v3, s29, v6
	v_mul_lo_u32 v4, s28, v0
	v_mad_u64_u32 v[0:1], s[4:5], s28, v6, 0
	s_addc_u32 s1, s3, s1
	v_cmp_eq_f32_e64 s[2:3], s22, 0
	v_add3_u32 v1, v1, v4, v3
	v_lshl_add_u64 v[0:1], v[0:1], 2, s[0:1]
	s_and_b64 vcc, exec, s[2:3]
	s_cbranch_vccnz .LBB15_21
; %bb.20:
	global_load_dword v3, v[0:1], off
	s_waitcnt vmcnt(0)
	v_fmac_f32_e32 v2, s22, v3
.LBB15_21:
	global_store_dword v[0:1], v2, off
.LBB15_22:
	s_endpgm
	.section	.rodata,"a",@progbits
	.p2align	6, 0x0
	.amdhsa_kernel _ZL20rocblas_gbmvt_kernelILi64ELi16E24rocblas_internal_val_ptrIfEPKfPfEvb18rocblas_operation_iiiiT1_T2_lllS7_lllS6_T3_llli
		.amdhsa_group_segment_fixed_size 0
		.amdhsa_private_segment_fixed_size 0
		.amdhsa_kernarg_size 140
		.amdhsa_user_sgpr_count 2
		.amdhsa_user_sgpr_dispatch_ptr 0
		.amdhsa_user_sgpr_queue_ptr 0
		.amdhsa_user_sgpr_kernarg_segment_ptr 1
		.amdhsa_user_sgpr_dispatch_id 0
		.amdhsa_user_sgpr_kernarg_preload_length 0
		.amdhsa_user_sgpr_kernarg_preload_offset 0
		.amdhsa_user_sgpr_private_segment_size 0
		.amdhsa_uses_dynamic_stack 0
		.amdhsa_enable_private_segment 0
		.amdhsa_system_sgpr_workgroup_id_x 1
		.amdhsa_system_sgpr_workgroup_id_y 0
		.amdhsa_system_sgpr_workgroup_id_z 1
		.amdhsa_system_sgpr_workgroup_info 0
		.amdhsa_system_vgpr_workitem_id 1
		.amdhsa_next_free_vgpr 11
		.amdhsa_next_free_sgpr 40
		.amdhsa_accum_offset 12
		.amdhsa_reserve_vcc 1
		.amdhsa_float_round_mode_32 0
		.amdhsa_float_round_mode_16_64 0
		.amdhsa_float_denorm_mode_32 3
		.amdhsa_float_denorm_mode_16_64 3
		.amdhsa_dx10_clamp 1
		.amdhsa_ieee_mode 1
		.amdhsa_fp16_overflow 0
		.amdhsa_tg_split 0
		.amdhsa_exception_fp_ieee_invalid_op 0
		.amdhsa_exception_fp_denorm_src 0
		.amdhsa_exception_fp_ieee_div_zero 0
		.amdhsa_exception_fp_ieee_overflow 0
		.amdhsa_exception_fp_ieee_underflow 0
		.amdhsa_exception_fp_ieee_inexact 0
		.amdhsa_exception_int_div_zero 0
	.end_amdhsa_kernel
	.section	.text._ZL20rocblas_gbmvt_kernelILi64ELi16E24rocblas_internal_val_ptrIfEPKfPfEvb18rocblas_operation_iiiiT1_T2_lllS7_lllS6_T3_llli,"axG",@progbits,_ZL20rocblas_gbmvt_kernelILi64ELi16E24rocblas_internal_val_ptrIfEPKfPfEvb18rocblas_operation_iiiiT1_T2_lllS7_lllS6_T3_llli,comdat
.Lfunc_end15:
	.size	_ZL20rocblas_gbmvt_kernelILi64ELi16E24rocblas_internal_val_ptrIfEPKfPfEvb18rocblas_operation_iiiiT1_T2_lllS7_lllS6_T3_llli, .Lfunc_end15-_ZL20rocblas_gbmvt_kernelILi64ELi16E24rocblas_internal_val_ptrIfEPKfPfEvb18rocblas_operation_iiiiT1_T2_lllS7_lllS6_T3_llli
                                        ; -- End function
	.set _ZL20rocblas_gbmvt_kernelILi64ELi16E24rocblas_internal_val_ptrIfEPKfPfEvb18rocblas_operation_iiiiT1_T2_lllS7_lllS6_T3_llli.num_vgpr, 11
	.set _ZL20rocblas_gbmvt_kernelILi64ELi16E24rocblas_internal_val_ptrIfEPKfPfEvb18rocblas_operation_iiiiT1_T2_lllS7_lllS6_T3_llli.num_agpr, 0
	.set _ZL20rocblas_gbmvt_kernelILi64ELi16E24rocblas_internal_val_ptrIfEPKfPfEvb18rocblas_operation_iiiiT1_T2_lllS7_lllS6_T3_llli.numbered_sgpr, 40
	.set _ZL20rocblas_gbmvt_kernelILi64ELi16E24rocblas_internal_val_ptrIfEPKfPfEvb18rocblas_operation_iiiiT1_T2_lllS7_lllS6_T3_llli.num_named_barrier, 0
	.set _ZL20rocblas_gbmvt_kernelILi64ELi16E24rocblas_internal_val_ptrIfEPKfPfEvb18rocblas_operation_iiiiT1_T2_lllS7_lllS6_T3_llli.private_seg_size, 0
	.set _ZL20rocblas_gbmvt_kernelILi64ELi16E24rocblas_internal_val_ptrIfEPKfPfEvb18rocblas_operation_iiiiT1_T2_lllS7_lllS6_T3_llli.uses_vcc, 1
	.set _ZL20rocblas_gbmvt_kernelILi64ELi16E24rocblas_internal_val_ptrIfEPKfPfEvb18rocblas_operation_iiiiT1_T2_lllS7_lllS6_T3_llli.uses_flat_scratch, 0
	.set _ZL20rocblas_gbmvt_kernelILi64ELi16E24rocblas_internal_val_ptrIfEPKfPfEvb18rocblas_operation_iiiiT1_T2_lllS7_lllS6_T3_llli.has_dyn_sized_stack, 0
	.set _ZL20rocblas_gbmvt_kernelILi64ELi16E24rocblas_internal_val_ptrIfEPKfPfEvb18rocblas_operation_iiiiT1_T2_lllS7_lllS6_T3_llli.has_recursion, 0
	.set _ZL20rocblas_gbmvt_kernelILi64ELi16E24rocblas_internal_val_ptrIfEPKfPfEvb18rocblas_operation_iiiiT1_T2_lllS7_lllS6_T3_llli.has_indirect_call, 0
	.section	.AMDGPU.csdata,"",@progbits
; Kernel info:
; codeLenInByte = 952
; TotalNumSgprs: 46
; NumVgprs: 11
; NumAgprs: 0
; TotalNumVgprs: 11
; ScratchSize: 0
; MemoryBound: 0
; FloatMode: 240
; IeeeMode: 1
; LDSByteSize: 0 bytes/workgroup (compile time only)
; SGPRBlocks: 5
; VGPRBlocks: 1
; NumSGPRsForWavesPerEU: 46
; NumVGPRsForWavesPerEU: 11
; AccumOffset: 12
; Occupancy: 8
; WaveLimiterHint : 0
; COMPUTE_PGM_RSRC2:SCRATCH_EN: 0
; COMPUTE_PGM_RSRC2:USER_SGPR: 2
; COMPUTE_PGM_RSRC2:TRAP_HANDLER: 0
; COMPUTE_PGM_RSRC2:TGID_X_EN: 1
; COMPUTE_PGM_RSRC2:TGID_Y_EN: 0
; COMPUTE_PGM_RSRC2:TGID_Z_EN: 1
; COMPUTE_PGM_RSRC2:TIDIG_COMP_CNT: 1
; COMPUTE_PGM_RSRC3_GFX90A:ACCUM_OFFSET: 2
; COMPUTE_PGM_RSRC3_GFX90A:TG_SPLIT: 0
	.section	.text._ZL20rocblas_gbmvn_kernelILi32ELi32E24rocblas_internal_val_ptrIdEPKdPdEvbiiiiT1_T2_lllS6_lllS5_T3_llli,"axG",@progbits,_ZL20rocblas_gbmvn_kernelILi32ELi32E24rocblas_internal_val_ptrIdEPKdPdEvbiiiiT1_T2_lllS6_lllS5_T3_llli,comdat
	.globl	_ZL20rocblas_gbmvn_kernelILi32ELi32E24rocblas_internal_val_ptrIdEPKdPdEvbiiiiT1_T2_lllS6_lllS5_T3_llli ; -- Begin function _ZL20rocblas_gbmvn_kernelILi32ELi32E24rocblas_internal_val_ptrIdEPKdPdEvbiiiiT1_T2_lllS6_lllS5_T3_llli
	.p2align	8
	.type	_ZL20rocblas_gbmvn_kernelILi32ELi32E24rocblas_internal_val_ptrIdEPKdPdEvbiiiiT1_T2_lllS6_lllS5_T3_llli,@function
_ZL20rocblas_gbmvn_kernelILi32ELi32E24rocblas_internal_val_ptrIdEPKdPdEvbiiiiT1_T2_lllS6_lllS5_T3_llli: ; @_ZL20rocblas_gbmvn_kernelILi32ELi32E24rocblas_internal_val_ptrIdEPKdPdEvbiiiiT1_T2_lllS6_lllS5_T3_llli
; %bb.0:
	s_load_dwordx4 s[36:39], s[0:1], 0x0
	s_load_dwordx16 s[4:19], s[0:1], 0x18
	s_load_dwordx4 s[28:31], s[0:1], 0x78
	s_load_dwordx8 s[20:27], s[0:1], 0x58
	s_waitcnt lgkmcnt(0)
	s_bitcmp1_b32 s36, 0
	s_cselect_b64 s[40:41], -1, 0
	s_xor_b64 s[34:35], s[40:41], -1
	s_and_b64 vcc, exec, s[40:41]
	v_mov_b64_e32 v[4:5], s[4:5]
	s_cbranch_vccnz .LBB16_2
; %bb.1:
	v_mov_b64_e32 v[2:3], s[4:5]
	flat_load_dwordx2 v[4:5], v[2:3]
.LBB16_2:
	s_andn2_b64 vcc, exec, s[34:35]
	v_mov_b64_e32 v[2:3], s[22:23]
	s_cbranch_vccnz .LBB16_4
; %bb.3:
	v_mov_b64_e32 v[2:3], s[22:23]
	flat_load_dwordx2 v[2:3], v[2:3]
.LBB16_4:
	s_waitcnt vmcnt(0) lgkmcnt(0)
	v_cmp_neq_f64_e32 vcc, 0, v[4:5]
	v_cmp_neq_f64_e64 s[4:5], 1.0, v[2:3]
	s_or_b64 s[4:5], vcc, s[4:5]
	s_and_saveexec_b64 s[22:23], s[4:5]
	s_cbranch_execz .LBB16_9
; %bb.5:
	s_load_dword s4, s[0:1], 0x10
	v_bfe_u32 v1, v0, 10, 10
	v_lshl_add_u32 v12, s2, 5, v1
	v_cmp_gt_i32_e32 vcc, s37, v12
	s_and_b64 exec, exec, vcc
	s_cbranch_execz .LBB16_9
; %bb.6:
	v_cmp_eq_f64_e32 vcc, 0, v[4:5]
                                        ; implicit-def: $vgpr13
	s_and_saveexec_b64 s[0:1], vcc
	s_xor_b64 s[0:1], exec, s[0:1]
	s_cbranch_execnz .LBB16_10
; %bb.7:
	s_or_saveexec_b64 s[0:1], s[0:1]
	v_mov_b64_e32 v[6:7], 0
	s_xor_b64 exec, exec, s[0:1]
	s_cbranch_execnz .LBB16_11
.LBB16_8:
	s_or_b64 exec, exec, s[0:1]
	v_cmp_eq_u32_e32 vcc, 0, v13
	s_and_b64 exec, exec, vcc
	s_cbranch_execnz .LBB16_18
.LBB16_9:
	s_endpgm
.LBB16_10:
	v_and_b32_e32 v13, 0x3ff, v0
                                        ; implicit-def: $vgpr4_vgpr5
                                        ; implicit-def: $vgpr0
	s_or_saveexec_b64 s[0:1], s[0:1]
	v_mov_b64_e32 v[6:7], 0
	s_xor_b64 exec, exec, s[0:1]
	s_cbranch_execz .LBB16_8
.LBB16_11:
	v_and_b32_e32 v13, 0x3ff, v0
	v_min_i32_e32 v1, s39, v12
	s_waitcnt lgkmcnt(0)
	v_sub_u32_e32 v0, s4, v13
	v_add_u32_e32 v0, v0, v1
	v_cmp_lt_i32_e32 vcc, -1, v0
	v_mov_b64_e32 v[6:7], 0
	s_and_saveexec_b64 s[4:5], vcc
	s_cbranch_execz .LBB16_17
; %bb.12:
	s_mul_i32 s2, s21, s3
	s_mul_hi_u32 s21, s20, s3
	v_subrev_u32_e32 v1, s39, v12
	s_add_i32 s21, s21, s2
	s_mul_i32 s20, s20, s3
	v_max_i32_e32 v1, 0, v1
	s_lshl_b64 s[20:21], s[20:21], 3
	s_lshl_b64 s[16:17], s[16:17], 3
	v_add_u32_e32 v14, v1, v13
	s_add_u32 s2, s14, s16
	v_ashrrev_i32_e32 v1, 31, v14
	s_addc_u32 s15, s15, s17
	v_mul_lo_u32 v8, s18, v1
	v_mul_lo_u32 v9, s19, v14
	v_mad_u64_u32 v[6:7], s[22:23], s18, v14, 0
	s_add_u32 s14, s2, s20
	s_mul_i32 s2, s13, s3
	s_mul_hi_u32 s13, s12, s3
	v_add3_u32 v7, v7, v8, v9
	s_addc_u32 s15, s15, s21
	s_add_i32 s13, s13, s2
	s_mul_i32 s12, s12, s3
	v_lshl_add_u64 v[8:9], v[6:7], 3, s[14:15]
	s_lshl_b64 s[14:15], s[18:19], 8
	s_lshl_b64 s[12:13], s[12:13], 3
	;; [unrolled: 1-line block ×3, first 2 shown]
	v_mul_lo_u32 v1, s10, v1
	v_mul_lo_u32 v10, s11, v14
	v_mad_u64_u32 v[6:7], s[16:17], s10, v14, 0
	s_add_u32 s8, s8, s12
	v_add3_u32 v7, v7, v1, v10
	s_addc_u32 s9, s9, s13
	v_lshl_add_u64 v[6:7], v[6:7], 3, s[8:9]
	v_mov_b32_e32 v1, 0
	v_lshl_add_u64 v[6:7], v[0:1], 3, v[6:7]
	v_lshl_add_u64 v[10:11], s[6:7], 0, v[6:7]
	s_lshl_b64 s[6:7], s[10:11], 8
	s_add_u32 s6, s6, 0xffffff00
	s_addc_u32 s7, s7, -1
	v_mov_b64_e32 v[6:7], 0
	s_mov_b64 s[8:9], 0
	s_mov_b64 s[10:11], 0
	s_branch .LBB16_14
.LBB16_13:                              ;   in Loop: Header=BB16_14 Depth=1
	s_or_b64 exec, exec, s[12:13]
	s_add_u32 s10, s10, 0xffffffe0
	v_add3_u32 v1, v0, s10, 32
	s_addc_u32 s11, s11, -1
	v_cmp_gt_u32_e32 vcc, 32, v1
	v_add_u32_e32 v14, 32, v14
	v_lshl_add_u64 v[8:9], v[8:9], 0, s[14:15]
	s_or_b64 s[8:9], vcc, s[8:9]
	v_lshl_add_u64 v[10:11], v[10:11], 0, s[6:7]
	s_andn2_b64 exec, exec, s[8:9]
	s_cbranch_execz .LBB16_16
.LBB16_14:                              ; =>This Inner Loop Header: Depth=1
	v_cmp_gt_i32_e32 vcc, s38, v14
	s_and_saveexec_b64 s[12:13], vcc
	s_cbranch_execz .LBB16_13
; %bb.15:                               ;   in Loop: Header=BB16_14 Depth=1
	global_load_dwordx2 v[16:17], v[10:11], off
	global_load_dwordx2 v[18:19], v[8:9], off
	s_waitcnt vmcnt(0)
	v_fmac_f64_e32 v[6:7], v[16:17], v[18:19]
	s_branch .LBB16_13
.LBB16_16:
	s_or_b64 exec, exec, s[8:9]
.LBB16_17:
	s_or_b64 exec, exec, s[4:5]
	v_mbcnt_lo_u32_b32 v0, -1, 0
	v_mbcnt_hi_u32_b32 v8, -1, v0
	v_and_b32_e32 v9, 63, v8
	v_cmp_gt_u32_e32 vcc, 48, v9
	s_barrier
	s_nop 0
	v_cndmask_b32_e64 v0, 0, 16, vcc
	v_add_lshl_u32 v1, v0, v8, 2
	ds_bpermute_b32 v0, v1, v6
	ds_bpermute_b32 v1, v1, v7
	v_cmp_gt_u32_e32 vcc, 56, v9
	s_waitcnt lgkmcnt(0)
	v_add_f64 v[0:1], v[6:7], v[0:1]
	v_cndmask_b32_e64 v10, 0, 8, vcc
	v_add_lshl_u32 v7, v10, v8, 2
	ds_bpermute_b32 v6, v7, v0
	ds_bpermute_b32 v7, v7, v1
	v_cmp_gt_u32_e32 vcc, 60, v9
	s_waitcnt lgkmcnt(0)
	v_add_f64 v[0:1], v[0:1], v[6:7]
	;; [unrolled: 7-line block ×3, first 2 shown]
	v_cndmask_b32_e64 v10, 0, 2, vcc
	v_add_lshl_u32 v7, v10, v8, 2
	ds_bpermute_b32 v6, v7, v0
	ds_bpermute_b32 v7, v7, v1
	v_cmp_ne_u32_e32 vcc, 63, v9
	s_waitcnt lgkmcnt(0)
	v_add_f64 v[0:1], v[0:1], v[6:7]
	v_addc_co_u32_e32 v6, vcc, 0, v8, vcc
	v_lshlrev_b32_e32 v7, 2, v6
	ds_bpermute_b32 v6, v7, v0
	ds_bpermute_b32 v7, v7, v1
	s_waitcnt lgkmcnt(0)
	v_add_f64 v[0:1], v[0:1], v[6:7]
	v_mul_f64 v[6:7], v[4:5], v[0:1]
	s_or_b64 exec, exec, s[0:1]
	v_cmp_eq_u32_e32 vcc, 0, v13
	s_and_b64 exec, exec, vcc
	s_cbranch_execz .LBB16_9
.LBB16_18:
	s_mul_i32 s0, s31, s3
	s_mul_hi_u32 s1, s30, s3
	s_add_i32 s1, s1, s0
	s_mul_i32 s0, s30, s3
	s_lshl_b64 s[0:1], s[0:1], 3
	s_add_u32 s2, s24, s0
	s_addc_u32 s3, s25, s1
	s_lshl_b64 s[0:1], s[26:27], 3
	s_add_u32 s0, s2, s0
	v_ashrrev_i32_e32 v0, 31, v12
	s_addc_u32 s1, s3, s1
	v_mul_lo_u32 v4, s29, v12
	v_mul_lo_u32 v5, s28, v0
	v_mad_u64_u32 v[0:1], s[2:3], s28, v12, 0
	v_add3_u32 v1, v1, v5, v4
	v_cmp_neq_f64_e32 vcc, 0, v[2:3]
	v_lshl_add_u64 v[0:1], v[0:1], 3, s[0:1]
	s_and_saveexec_b64 s[0:1], vcc
	s_cbranch_execz .LBB16_20
; %bb.19:
	global_load_dwordx2 v[4:5], v[0:1], off
	s_waitcnt vmcnt(0)
	v_fmac_f64_e32 v[6:7], v[2:3], v[4:5]
.LBB16_20:
	s_or_b64 exec, exec, s[0:1]
	global_store_dwordx2 v[0:1], v[6:7], off
	s_endpgm
	.section	.rodata,"a",@progbits
	.p2align	6, 0x0
	.amdhsa_kernel _ZL20rocblas_gbmvn_kernelILi32ELi32E24rocblas_internal_val_ptrIdEPKdPdEvbiiiiT1_T2_lllS6_lllS5_T3_llli
		.amdhsa_group_segment_fixed_size 0
		.amdhsa_private_segment_fixed_size 0
		.amdhsa_kernarg_size 140
		.amdhsa_user_sgpr_count 2
		.amdhsa_user_sgpr_dispatch_ptr 0
		.amdhsa_user_sgpr_queue_ptr 0
		.amdhsa_user_sgpr_kernarg_segment_ptr 1
		.amdhsa_user_sgpr_dispatch_id 0
		.amdhsa_user_sgpr_kernarg_preload_length 0
		.amdhsa_user_sgpr_kernarg_preload_offset 0
		.amdhsa_user_sgpr_private_segment_size 0
		.amdhsa_uses_dynamic_stack 0
		.amdhsa_enable_private_segment 0
		.amdhsa_system_sgpr_workgroup_id_x 1
		.amdhsa_system_sgpr_workgroup_id_y 0
		.amdhsa_system_sgpr_workgroup_id_z 1
		.amdhsa_system_sgpr_workgroup_info 0
		.amdhsa_system_vgpr_workitem_id 1
		.amdhsa_next_free_vgpr 20
		.amdhsa_next_free_sgpr 42
		.amdhsa_accum_offset 20
		.amdhsa_reserve_vcc 1
		.amdhsa_float_round_mode_32 0
		.amdhsa_float_round_mode_16_64 0
		.amdhsa_float_denorm_mode_32 3
		.amdhsa_float_denorm_mode_16_64 3
		.amdhsa_dx10_clamp 1
		.amdhsa_ieee_mode 1
		.amdhsa_fp16_overflow 0
		.amdhsa_tg_split 0
		.amdhsa_exception_fp_ieee_invalid_op 0
		.amdhsa_exception_fp_denorm_src 0
		.amdhsa_exception_fp_ieee_div_zero 0
		.amdhsa_exception_fp_ieee_overflow 0
		.amdhsa_exception_fp_ieee_underflow 0
		.amdhsa_exception_fp_ieee_inexact 0
		.amdhsa_exception_int_div_zero 0
	.end_amdhsa_kernel
	.section	.text._ZL20rocblas_gbmvn_kernelILi32ELi32E24rocblas_internal_val_ptrIdEPKdPdEvbiiiiT1_T2_lllS6_lllS5_T3_llli,"axG",@progbits,_ZL20rocblas_gbmvn_kernelILi32ELi32E24rocblas_internal_val_ptrIdEPKdPdEvbiiiiT1_T2_lllS6_lllS5_T3_llli,comdat
.Lfunc_end16:
	.size	_ZL20rocblas_gbmvn_kernelILi32ELi32E24rocblas_internal_val_ptrIdEPKdPdEvbiiiiT1_T2_lllS6_lllS5_T3_llli, .Lfunc_end16-_ZL20rocblas_gbmvn_kernelILi32ELi32E24rocblas_internal_val_ptrIdEPKdPdEvbiiiiT1_T2_lllS6_lllS5_T3_llli
                                        ; -- End function
	.set _ZL20rocblas_gbmvn_kernelILi32ELi32E24rocblas_internal_val_ptrIdEPKdPdEvbiiiiT1_T2_lllS6_lllS5_T3_llli.num_vgpr, 20
	.set _ZL20rocblas_gbmvn_kernelILi32ELi32E24rocblas_internal_val_ptrIdEPKdPdEvbiiiiT1_T2_lllS6_lllS5_T3_llli.num_agpr, 0
	.set _ZL20rocblas_gbmvn_kernelILi32ELi32E24rocblas_internal_val_ptrIdEPKdPdEvbiiiiT1_T2_lllS6_lllS5_T3_llli.numbered_sgpr, 42
	.set _ZL20rocblas_gbmvn_kernelILi32ELi32E24rocblas_internal_val_ptrIdEPKdPdEvbiiiiT1_T2_lllS6_lllS5_T3_llli.num_named_barrier, 0
	.set _ZL20rocblas_gbmvn_kernelILi32ELi32E24rocblas_internal_val_ptrIdEPKdPdEvbiiiiT1_T2_lllS6_lllS5_T3_llli.private_seg_size, 0
	.set _ZL20rocblas_gbmvn_kernelILi32ELi32E24rocblas_internal_val_ptrIdEPKdPdEvbiiiiT1_T2_lllS6_lllS5_T3_llli.uses_vcc, 1
	.set _ZL20rocblas_gbmvn_kernelILi32ELi32E24rocblas_internal_val_ptrIdEPKdPdEvbiiiiT1_T2_lllS6_lllS5_T3_llli.uses_flat_scratch, 0
	.set _ZL20rocblas_gbmvn_kernelILi32ELi32E24rocblas_internal_val_ptrIdEPKdPdEvbiiiiT1_T2_lllS6_lllS5_T3_llli.has_dyn_sized_stack, 0
	.set _ZL20rocblas_gbmvn_kernelILi32ELi32E24rocblas_internal_val_ptrIdEPKdPdEvbiiiiT1_T2_lllS6_lllS5_T3_llli.has_recursion, 0
	.set _ZL20rocblas_gbmvn_kernelILi32ELi32E24rocblas_internal_val_ptrIdEPKdPdEvbiiiiT1_T2_lllS6_lllS5_T3_llli.has_indirect_call, 0
	.section	.AMDGPU.csdata,"",@progbits
; Kernel info:
; codeLenInByte = 1020
; TotalNumSgprs: 48
; NumVgprs: 20
; NumAgprs: 0
; TotalNumVgprs: 20
; ScratchSize: 0
; MemoryBound: 1
; FloatMode: 240
; IeeeMode: 1
; LDSByteSize: 0 bytes/workgroup (compile time only)
; SGPRBlocks: 5
; VGPRBlocks: 2
; NumSGPRsForWavesPerEU: 48
; NumVGPRsForWavesPerEU: 20
; AccumOffset: 20
; Occupancy: 8
; WaveLimiterHint : 0
; COMPUTE_PGM_RSRC2:SCRATCH_EN: 0
; COMPUTE_PGM_RSRC2:USER_SGPR: 2
; COMPUTE_PGM_RSRC2:TRAP_HANDLER: 0
; COMPUTE_PGM_RSRC2:TGID_X_EN: 1
; COMPUTE_PGM_RSRC2:TGID_Y_EN: 0
; COMPUTE_PGM_RSRC2:TGID_Z_EN: 1
; COMPUTE_PGM_RSRC2:TIDIG_COMP_CNT: 1
; COMPUTE_PGM_RSRC3_GFX90A:ACCUM_OFFSET: 4
; COMPUTE_PGM_RSRC3_GFX90A:TG_SPLIT: 0
	.section	.text._ZL20rocblas_gbmvn_kernelILi64ELi16E24rocblas_internal_val_ptrIdEPKdPdEvbiiiiT1_T2_lllS6_lllS5_T3_llli,"axG",@progbits,_ZL20rocblas_gbmvn_kernelILi64ELi16E24rocblas_internal_val_ptrIdEPKdPdEvbiiiiT1_T2_lllS6_lllS5_T3_llli,comdat
	.globl	_ZL20rocblas_gbmvn_kernelILi64ELi16E24rocblas_internal_val_ptrIdEPKdPdEvbiiiiT1_T2_lllS6_lllS5_T3_llli ; -- Begin function _ZL20rocblas_gbmvn_kernelILi64ELi16E24rocblas_internal_val_ptrIdEPKdPdEvbiiiiT1_T2_lllS6_lllS5_T3_llli
	.p2align	8
	.type	_ZL20rocblas_gbmvn_kernelILi64ELi16E24rocblas_internal_val_ptrIdEPKdPdEvbiiiiT1_T2_lllS6_lllS5_T3_llli,@function
_ZL20rocblas_gbmvn_kernelILi64ELi16E24rocblas_internal_val_ptrIdEPKdPdEvbiiiiT1_T2_lllS6_lllS5_T3_llli: ; @_ZL20rocblas_gbmvn_kernelILi64ELi16E24rocblas_internal_val_ptrIdEPKdPdEvbiiiiT1_T2_lllS6_lllS5_T3_llli
; %bb.0:
	s_load_dwordx4 s[36:39], s[0:1], 0x0
	s_load_dwordx16 s[4:19], s[0:1], 0x18
	s_load_dwordx4 s[28:31], s[0:1], 0x78
	s_load_dwordx8 s[20:27], s[0:1], 0x58
	s_waitcnt lgkmcnt(0)
	s_bitcmp1_b32 s36, 0
	s_cselect_b64 s[40:41], -1, 0
	s_xor_b64 s[34:35], s[40:41], -1
	s_and_b64 vcc, exec, s[40:41]
	v_mov_b64_e32 v[4:5], s[4:5]
	s_cbranch_vccnz .LBB17_2
; %bb.1:
	v_mov_b64_e32 v[2:3], s[4:5]
	flat_load_dwordx2 v[4:5], v[2:3]
.LBB17_2:
	s_andn2_b64 vcc, exec, s[34:35]
	v_mov_b64_e32 v[2:3], s[22:23]
	s_cbranch_vccnz .LBB17_4
; %bb.3:
	v_mov_b64_e32 v[2:3], s[22:23]
	flat_load_dwordx2 v[2:3], v[2:3]
.LBB17_4:
	s_waitcnt vmcnt(0) lgkmcnt(0)
	v_cmp_neq_f64_e32 vcc, 0, v[4:5]
	v_cmp_neq_f64_e64 s[4:5], 1.0, v[2:3]
	s_or_b64 s[4:5], vcc, s[4:5]
	s_and_saveexec_b64 s[22:23], s[4:5]
	s_cbranch_execz .LBB17_9
; %bb.5:
	s_load_dword s4, s[0:1], 0x10
	v_bfe_u32 v1, v0, 10, 10
	v_lshl_add_u32 v12, s2, 4, v1
	v_cmp_gt_i32_e32 vcc, s37, v12
	s_and_b64 exec, exec, vcc
	s_cbranch_execz .LBB17_9
; %bb.6:
	v_cmp_eq_f64_e32 vcc, 0, v[4:5]
                                        ; implicit-def: $vgpr13
	s_and_saveexec_b64 s[0:1], vcc
	s_xor_b64 s[0:1], exec, s[0:1]
	s_cbranch_execnz .LBB17_10
; %bb.7:
	s_or_saveexec_b64 s[0:1], s[0:1]
	v_mov_b64_e32 v[6:7], 0
	s_xor_b64 exec, exec, s[0:1]
	s_cbranch_execnz .LBB17_11
.LBB17_8:
	s_or_b64 exec, exec, s[0:1]
	v_cmp_eq_u32_e32 vcc, 0, v13
	s_and_b64 exec, exec, vcc
	s_cbranch_execnz .LBB17_18
.LBB17_9:
	s_endpgm
.LBB17_10:
	v_and_b32_e32 v13, 0x3ff, v0
                                        ; implicit-def: $vgpr4_vgpr5
                                        ; implicit-def: $vgpr0
	s_or_saveexec_b64 s[0:1], s[0:1]
	v_mov_b64_e32 v[6:7], 0
	s_xor_b64 exec, exec, s[0:1]
	s_cbranch_execz .LBB17_8
.LBB17_11:
	v_and_b32_e32 v13, 0x3ff, v0
	v_min_i32_e32 v1, s39, v12
	s_waitcnt lgkmcnt(0)
	v_sub_u32_e32 v0, s4, v13
	v_add_u32_e32 v0, v0, v1
	v_cmp_lt_i32_e32 vcc, -1, v0
	v_mov_b64_e32 v[8:9], 0
	s_and_saveexec_b64 s[4:5], vcc
	s_cbranch_execz .LBB17_17
; %bb.12:
	s_mul_i32 s2, s21, s3
	s_mul_hi_u32 s21, s20, s3
	v_subrev_u32_e32 v1, s39, v12
	s_add_i32 s21, s21, s2
	s_mul_i32 s20, s20, s3
	v_max_i32_e32 v1, 0, v1
	s_lshl_b64 s[20:21], s[20:21], 3
	s_lshl_b64 s[16:17], s[16:17], 3
	v_add_u32_e32 v14, v1, v13
	s_add_u32 s2, s14, s16
	v_ashrrev_i32_e32 v1, 31, v14
	s_addc_u32 s15, s15, s17
	v_mul_lo_u32 v8, s18, v1
	v_mul_lo_u32 v9, s19, v14
	v_mad_u64_u32 v[6:7], s[22:23], s18, v14, 0
	s_add_u32 s14, s2, s20
	s_mul_i32 s2, s13, s3
	s_mul_hi_u32 s13, s12, s3
	v_add3_u32 v7, v7, v8, v9
	s_addc_u32 s15, s15, s21
	s_add_i32 s13, s13, s2
	s_mul_i32 s12, s12, s3
	v_lshl_add_u64 v[6:7], v[6:7], 3, s[14:15]
	s_lshl_b64 s[14:15], s[18:19], 9
	s_lshl_b64 s[12:13], s[12:13], 3
	;; [unrolled: 1-line block ×3, first 2 shown]
	v_mul_lo_u32 v1, s10, v1
	v_mul_lo_u32 v10, s11, v14
	v_mad_u64_u32 v[8:9], s[16:17], s10, v14, 0
	s_add_u32 s8, s8, s12
	v_add3_u32 v9, v9, v1, v10
	s_addc_u32 s9, s9, s13
	v_lshl_add_u64 v[8:9], v[8:9], 3, s[8:9]
	v_mov_b32_e32 v1, 0
	v_lshl_add_u64 v[8:9], v[0:1], 3, v[8:9]
	v_lshl_add_u64 v[10:11], s[6:7], 0, v[8:9]
	s_lshl_b64 s[6:7], s[10:11], 9
	s_add_u32 s6, s6, 0xfffffe00
	s_addc_u32 s7, s7, -1
	v_mov_b64_e32 v[8:9], 0
	s_mov_b64 s[8:9], 0
	s_mov_b64 s[10:11], 0
	s_branch .LBB17_14
.LBB17_13:                              ;   in Loop: Header=BB17_14 Depth=1
	s_or_b64 exec, exec, s[12:13]
	s_add_u32 s10, s10, 0xffffffc0
	v_add3_u32 v1, v0, s10, 64
	s_addc_u32 s11, s11, -1
	v_cmp_gt_u32_e32 vcc, 64, v1
	v_add_u32_e32 v14, 64, v14
	v_lshl_add_u64 v[6:7], v[6:7], 0, s[14:15]
	s_or_b64 s[8:9], vcc, s[8:9]
	v_lshl_add_u64 v[10:11], v[10:11], 0, s[6:7]
	s_andn2_b64 exec, exec, s[8:9]
	s_cbranch_execz .LBB17_16
.LBB17_14:                              ; =>This Inner Loop Header: Depth=1
	v_cmp_gt_i32_e32 vcc, s38, v14
	s_and_saveexec_b64 s[12:13], vcc
	s_cbranch_execz .LBB17_13
; %bb.15:                               ;   in Loop: Header=BB17_14 Depth=1
	global_load_dwordx2 v[16:17], v[10:11], off
	global_load_dwordx2 v[18:19], v[6:7], off
	s_waitcnt vmcnt(0)
	v_fmac_f64_e32 v[8:9], v[16:17], v[18:19]
	s_branch .LBB17_13
.LBB17_16:
	s_or_b64 exec, exec, s[8:9]
.LBB17_17:
	s_or_b64 exec, exec, s[4:5]
	v_mbcnt_lo_u32_b32 v0, -1, 0
	v_mbcnt_hi_u32_b32 v10, -1, v0
	v_mov_b32_e32 v0, 0x80
	v_lshl_or_b32 v1, v10, 2, v0
	ds_bpermute_b32 v0, v1, v8
	ds_bpermute_b32 v1, v1, v9
	v_and_b32_e32 v11, 63, v10
	v_cmp_gt_u32_e32 vcc, 48, v11
	s_waitcnt lgkmcnt(0)
	s_barrier
	v_cndmask_b32_e64 v6, 0, 16, vcc
	v_add_f64 v[0:1], v[8:9], v[0:1]
	v_add_lshl_u32 v7, v6, v10, 2
	ds_bpermute_b32 v6, v7, v0
	ds_bpermute_b32 v7, v7, v1
	v_cmp_gt_u32_e32 vcc, 56, v11
	s_waitcnt lgkmcnt(0)
	v_add_f64 v[0:1], v[0:1], v[6:7]
	v_cndmask_b32_e64 v6, 0, 8, vcc
	v_add_lshl_u32 v7, v6, v10, 2
	ds_bpermute_b32 v6, v7, v0
	ds_bpermute_b32 v7, v7, v1
	v_cmp_gt_u32_e32 vcc, 60, v11
	s_waitcnt lgkmcnt(0)
	v_add_f64 v[0:1], v[0:1], v[6:7]
	v_cndmask_b32_e64 v6, 0, 4, vcc
	;; [unrolled: 7-line block ×3, first 2 shown]
	v_add_lshl_u32 v7, v6, v10, 2
	ds_bpermute_b32 v6, v7, v0
	ds_bpermute_b32 v7, v7, v1
	v_cmp_ne_u32_e32 vcc, 63, v11
	s_waitcnt lgkmcnt(0)
	v_add_f64 v[0:1], v[0:1], v[6:7]
	v_addc_co_u32_e32 v6, vcc, 0, v10, vcc
	v_lshlrev_b32_e32 v7, 2, v6
	ds_bpermute_b32 v6, v7, v0
	ds_bpermute_b32 v7, v7, v1
	s_waitcnt lgkmcnt(0)
	v_add_f64 v[0:1], v[0:1], v[6:7]
	v_mul_f64 v[6:7], v[4:5], v[0:1]
	s_or_b64 exec, exec, s[0:1]
	v_cmp_eq_u32_e32 vcc, 0, v13
	s_and_b64 exec, exec, vcc
	s_cbranch_execz .LBB17_9
.LBB17_18:
	s_mul_i32 s0, s31, s3
	s_mul_hi_u32 s1, s30, s3
	s_add_i32 s1, s1, s0
	s_mul_i32 s0, s30, s3
	s_lshl_b64 s[0:1], s[0:1], 3
	s_add_u32 s2, s24, s0
	s_addc_u32 s3, s25, s1
	s_lshl_b64 s[0:1], s[26:27], 3
	s_add_u32 s0, s2, s0
	v_ashrrev_i32_e32 v0, 31, v12
	s_addc_u32 s1, s3, s1
	v_mul_lo_u32 v4, s29, v12
	v_mul_lo_u32 v5, s28, v0
	v_mad_u64_u32 v[0:1], s[2:3], s28, v12, 0
	v_add3_u32 v1, v1, v5, v4
	v_cmp_neq_f64_e32 vcc, 0, v[2:3]
	v_lshl_add_u64 v[0:1], v[0:1], 3, s[0:1]
	s_and_saveexec_b64 s[0:1], vcc
	s_cbranch_execz .LBB17_20
; %bb.19:
	global_load_dwordx2 v[4:5], v[0:1], off
	s_waitcnt vmcnt(0)
	v_fmac_f64_e32 v[6:7], v[2:3], v[4:5]
.LBB17_20:
	s_or_b64 exec, exec, s[0:1]
	global_store_dwordx2 v[0:1], v[6:7], off
	s_endpgm
	.section	.rodata,"a",@progbits
	.p2align	6, 0x0
	.amdhsa_kernel _ZL20rocblas_gbmvn_kernelILi64ELi16E24rocblas_internal_val_ptrIdEPKdPdEvbiiiiT1_T2_lllS6_lllS5_T3_llli
		.amdhsa_group_segment_fixed_size 0
		.amdhsa_private_segment_fixed_size 0
		.amdhsa_kernarg_size 140
		.amdhsa_user_sgpr_count 2
		.amdhsa_user_sgpr_dispatch_ptr 0
		.amdhsa_user_sgpr_queue_ptr 0
		.amdhsa_user_sgpr_kernarg_segment_ptr 1
		.amdhsa_user_sgpr_dispatch_id 0
		.amdhsa_user_sgpr_kernarg_preload_length 0
		.amdhsa_user_sgpr_kernarg_preload_offset 0
		.amdhsa_user_sgpr_private_segment_size 0
		.amdhsa_uses_dynamic_stack 0
		.amdhsa_enable_private_segment 0
		.amdhsa_system_sgpr_workgroup_id_x 1
		.amdhsa_system_sgpr_workgroup_id_y 0
		.amdhsa_system_sgpr_workgroup_id_z 1
		.amdhsa_system_sgpr_workgroup_info 0
		.amdhsa_system_vgpr_workitem_id 1
		.amdhsa_next_free_vgpr 20
		.amdhsa_next_free_sgpr 42
		.amdhsa_accum_offset 20
		.amdhsa_reserve_vcc 1
		.amdhsa_float_round_mode_32 0
		.amdhsa_float_round_mode_16_64 0
		.amdhsa_float_denorm_mode_32 3
		.amdhsa_float_denorm_mode_16_64 3
		.amdhsa_dx10_clamp 1
		.amdhsa_ieee_mode 1
		.amdhsa_fp16_overflow 0
		.amdhsa_tg_split 0
		.amdhsa_exception_fp_ieee_invalid_op 0
		.amdhsa_exception_fp_denorm_src 0
		.amdhsa_exception_fp_ieee_div_zero 0
		.amdhsa_exception_fp_ieee_overflow 0
		.amdhsa_exception_fp_ieee_underflow 0
		.amdhsa_exception_fp_ieee_inexact 0
		.amdhsa_exception_int_div_zero 0
	.end_amdhsa_kernel
	.section	.text._ZL20rocblas_gbmvn_kernelILi64ELi16E24rocblas_internal_val_ptrIdEPKdPdEvbiiiiT1_T2_lllS6_lllS5_T3_llli,"axG",@progbits,_ZL20rocblas_gbmvn_kernelILi64ELi16E24rocblas_internal_val_ptrIdEPKdPdEvbiiiiT1_T2_lllS6_lllS5_T3_llli,comdat
.Lfunc_end17:
	.size	_ZL20rocblas_gbmvn_kernelILi64ELi16E24rocblas_internal_val_ptrIdEPKdPdEvbiiiiT1_T2_lllS6_lllS5_T3_llli, .Lfunc_end17-_ZL20rocblas_gbmvn_kernelILi64ELi16E24rocblas_internal_val_ptrIdEPKdPdEvbiiiiT1_T2_lllS6_lllS5_T3_llli
                                        ; -- End function
	.set _ZL20rocblas_gbmvn_kernelILi64ELi16E24rocblas_internal_val_ptrIdEPKdPdEvbiiiiT1_T2_lllS6_lllS5_T3_llli.num_vgpr, 20
	.set _ZL20rocblas_gbmvn_kernelILi64ELi16E24rocblas_internal_val_ptrIdEPKdPdEvbiiiiT1_T2_lllS6_lllS5_T3_llli.num_agpr, 0
	.set _ZL20rocblas_gbmvn_kernelILi64ELi16E24rocblas_internal_val_ptrIdEPKdPdEvbiiiiT1_T2_lllS6_lllS5_T3_llli.numbered_sgpr, 42
	.set _ZL20rocblas_gbmvn_kernelILi64ELi16E24rocblas_internal_val_ptrIdEPKdPdEvbiiiiT1_T2_lllS6_lllS5_T3_llli.num_named_barrier, 0
	.set _ZL20rocblas_gbmvn_kernelILi64ELi16E24rocblas_internal_val_ptrIdEPKdPdEvbiiiiT1_T2_lllS6_lllS5_T3_llli.private_seg_size, 0
	.set _ZL20rocblas_gbmvn_kernelILi64ELi16E24rocblas_internal_val_ptrIdEPKdPdEvbiiiiT1_T2_lllS6_lllS5_T3_llli.uses_vcc, 1
	.set _ZL20rocblas_gbmvn_kernelILi64ELi16E24rocblas_internal_val_ptrIdEPKdPdEvbiiiiT1_T2_lllS6_lllS5_T3_llli.uses_flat_scratch, 0
	.set _ZL20rocblas_gbmvn_kernelILi64ELi16E24rocblas_internal_val_ptrIdEPKdPdEvbiiiiT1_T2_lllS6_lllS5_T3_llli.has_dyn_sized_stack, 0
	.set _ZL20rocblas_gbmvn_kernelILi64ELi16E24rocblas_internal_val_ptrIdEPKdPdEvbiiiiT1_T2_lllS6_lllS5_T3_llli.has_recursion, 0
	.set _ZL20rocblas_gbmvn_kernelILi64ELi16E24rocblas_internal_val_ptrIdEPKdPdEvbiiiiT1_T2_lllS6_lllS5_T3_llli.has_indirect_call, 0
	.section	.AMDGPU.csdata,"",@progbits
; Kernel info:
; codeLenInByte = 1060
; TotalNumSgprs: 48
; NumVgprs: 20
; NumAgprs: 0
; TotalNumVgprs: 20
; ScratchSize: 0
; MemoryBound: 1
; FloatMode: 240
; IeeeMode: 1
; LDSByteSize: 0 bytes/workgroup (compile time only)
; SGPRBlocks: 5
; VGPRBlocks: 2
; NumSGPRsForWavesPerEU: 48
; NumVGPRsForWavesPerEU: 20
; AccumOffset: 20
; Occupancy: 8
; WaveLimiterHint : 0
; COMPUTE_PGM_RSRC2:SCRATCH_EN: 0
; COMPUTE_PGM_RSRC2:USER_SGPR: 2
; COMPUTE_PGM_RSRC2:TRAP_HANDLER: 0
; COMPUTE_PGM_RSRC2:TGID_X_EN: 1
; COMPUTE_PGM_RSRC2:TGID_Y_EN: 0
; COMPUTE_PGM_RSRC2:TGID_Z_EN: 1
; COMPUTE_PGM_RSRC2:TIDIG_COMP_CNT: 1
; COMPUTE_PGM_RSRC3_GFX90A:ACCUM_OFFSET: 4
; COMPUTE_PGM_RSRC3_GFX90A:TG_SPLIT: 0
	.section	.text._ZL20rocblas_gbmvt_kernelILi32ELi32E24rocblas_internal_val_ptrIdEPKdPdEvb18rocblas_operation_iiiiT1_T2_lllS7_lllS6_T3_llli,"axG",@progbits,_ZL20rocblas_gbmvt_kernelILi32ELi32E24rocblas_internal_val_ptrIdEPKdPdEvb18rocblas_operation_iiiiT1_T2_lllS7_lllS6_T3_llli,comdat
	.globl	_ZL20rocblas_gbmvt_kernelILi32ELi32E24rocblas_internal_val_ptrIdEPKdPdEvb18rocblas_operation_iiiiT1_T2_lllS7_lllS6_T3_llli ; -- Begin function _ZL20rocblas_gbmvt_kernelILi32ELi32E24rocblas_internal_val_ptrIdEPKdPdEvb18rocblas_operation_iiiiT1_T2_lllS7_lllS6_T3_llli
	.p2align	8
	.type	_ZL20rocblas_gbmvt_kernelILi32ELi32E24rocblas_internal_val_ptrIdEPKdPdEvb18rocblas_operation_iiiiT1_T2_lllS7_lllS6_T3_llli,@function
_ZL20rocblas_gbmvt_kernelILi32ELi32E24rocblas_internal_val_ptrIdEPKdPdEvb18rocblas_operation_iiiiT1_T2_lllS7_lllS6_T3_llli: ; @_ZL20rocblas_gbmvt_kernelILi32ELi32E24rocblas_internal_val_ptrIdEPKdPdEvb18rocblas_operation_iiiiT1_T2_lllS7_lllS6_T3_llli
; %bb.0:
	s_load_dword s20, s[0:1], 0x0
	s_load_dwordx16 s[4:19], s[0:1], 0x18
	s_waitcnt lgkmcnt(0)
	s_bitcmp1_b32 s20, 0
	s_load_dwordx4 s[28:31], s[0:1], 0x78
	s_load_dwordx8 s[20:27], s[0:1], 0x58
	s_cselect_b64 s[36:37], -1, 0
	s_xor_b64 s[34:35], s[36:37], -1
	s_and_b64 vcc, exec, s[36:37]
	v_mov_b64_e32 v[4:5], s[4:5]
	s_cbranch_vccnz .LBB18_2
; %bb.1:
	v_mov_b64_e32 v[2:3], s[4:5]
	flat_load_dwordx2 v[4:5], v[2:3]
.LBB18_2:
	s_andn2_b64 vcc, exec, s[34:35]
	s_waitcnt lgkmcnt(0)
	v_mov_b64_e32 v[2:3], s[22:23]
	s_cbranch_vccnz .LBB18_4
; %bb.3:
	v_mov_b64_e32 v[2:3], s[22:23]
	flat_load_dwordx2 v[2:3], v[2:3]
.LBB18_4:
	s_waitcnt vmcnt(0)
	v_cmp_neq_f64_e32 vcc, 0, v[4:5]
	s_waitcnt lgkmcnt(0)
	v_cmp_neq_f64_e64 s[4:5], 1.0, v[2:3]
	s_or_b64 s[4:5], vcc, s[4:5]
	s_and_saveexec_b64 s[22:23], s[4:5]
	s_cbranch_execz .LBB18_20
; %bb.5:
	s_load_dwordx4 s[36:39], s[0:1], 0x8
	v_bfe_u32 v1, v0, 10, 10
	v_lshl_add_u32 v10, s2, 5, v1
	s_waitcnt lgkmcnt(0)
	v_cmp_gt_i32_e32 vcc, s37, v10
	s_and_b64 exec, exec, vcc
	s_cbranch_execz .LBB18_20
; %bb.6:
	v_mov_b64_e32 v[6:7], 0
	v_cmp_neq_f64_e32 vcc, 0, v[4:5]
	v_and_b32_e32 v11, 0x3ff, v0
	s_and_saveexec_b64 s[4:5], vcc
	s_cbranch_execz .LBB18_16
; %bb.7:
	s_add_i32 s2, s39, s38
	v_cmp_ge_i32_e32 vcc, s2, v11
	v_mov_b64_e32 v[0:1], 0
	s_and_saveexec_b64 s[22:23], vcc
	s_cbranch_execz .LBB18_15
; %bb.8:
	v_mad_u64_u32 v[0:1], s[0:1], s10, v10, 0
	s_mul_i32 s0, s13, s3
	s_mul_hi_u32 s1, s12, s3
	s_add_i32 s1, s1, s0
	s_mul_i32 s0, s12, s3
	v_ashrrev_i32_e32 v8, 31, v10
	s_lshl_b64 s[0:1], s[0:1], 3
	s_lshl_b64 s[8:9], s[8:9], 3
	v_mul_lo_u32 v6, s11, v10
	v_mul_lo_u32 v7, s10, v8
	s_add_u32 s0, s8, s0
	v_add3_u32 v1, v1, v7, v6
	s_addc_u32 s1, s9, s1
	v_lshl_add_u64 v[0:1], v[0:1], 3, s[0:1]
	v_lshlrev_b32_e32 v6, 3, v11
	v_mov_b32_e32 v7, 0
	v_lshl_add_u64 v[0:1], v[0:1], 0, v[6:7]
	v_sub_u32_e32 v12, s39, v11
	v_lshl_add_u64 v[6:7], s[6:7], 0, v[0:1]
	v_ashrrev_i32_e32 v0, 31, v12
	v_sub_co_u32_e32 v1, vcc, v10, v12
	s_lshl_b64 s[6:7], s[16:17], 3
	s_nop 0
	v_subb_co_u32_e32 v0, vcc, v8, v0, vcc
	v_mul_lo_u32 v8, s19, v1
	v_mul_lo_u32 v9, s18, v0
	v_mad_u64_u32 v[0:1], s[0:1], s18, v1, 0
	s_mul_i32 s0, s21, s3
	s_mul_hi_u32 s1, s20, s3
	s_add_i32 s1, s1, s0
	s_mul_i32 s0, s20, s3
	s_lshl_b64 s[0:1], s[0:1], 3
	s_add_u32 s6, s14, s6
	s_addc_u32 s7, s15, s7
	s_add_u32 s0, s6, s0
	v_add3_u32 v1, v1, v9, v8
	s_addc_u32 s1, s7, s1
	v_lshl_add_u64 v[8:9], v[0:1], 3, s[0:1]
	s_lshl_b64 s[6:7], s[18:19], 8
	v_mov_b64_e32 v[0:1], 0
	s_mov_b64 s[8:9], 0
	s_mov_b64 s[10:11], 0x100
	v_mov_b32_e32 v13, v11
	s_branch .LBB18_11
.LBB18_9:                               ;   in Loop: Header=BB18_11 Depth=1
	s_or_b64 exec, exec, s[0:1]
.LBB18_10:                              ;   in Loop: Header=BB18_11 Depth=1
	s_or_b64 exec, exec, s[12:13]
	v_add_u32_e32 v13, 32, v13
	v_cmp_lt_i32_e32 vcc, s2, v13
	v_lshl_add_u64 v[6:7], v[6:7], 0, s[10:11]
	v_lshl_add_u64 v[8:9], v[8:9], 0, s[6:7]
	s_or_b64 s[8:9], vcc, s[8:9]
	v_subrev_u32_e32 v12, 32, v12
	s_andn2_b64 exec, exec, s[8:9]
	s_cbranch_execz .LBB18_14
.LBB18_11:                              ; =>This Inner Loop Header: Depth=1
	v_add_u32_e32 v14, s36, v12
	v_cmp_lt_i32_e32 vcc, v10, v14
	s_and_saveexec_b64 s[12:13], vcc
	s_cbranch_execz .LBB18_10
; %bb.12:                               ;   in Loop: Header=BB18_11 Depth=1
	v_cmp_lt_i32_e32 vcc, s39, v13
	v_cmp_ge_i32_e64 s[0:1], v10, v12
	s_or_b64 s[14:15], vcc, s[0:1]
	s_and_saveexec_b64 s[0:1], s[14:15]
	s_cbranch_execz .LBB18_9
; %bb.13:                               ;   in Loop: Header=BB18_11 Depth=1
	global_load_dwordx2 v[14:15], v[6:7], off
	global_load_dwordx2 v[16:17], v[8:9], off
	s_waitcnt vmcnt(0)
	v_fmac_f64_e32 v[0:1], v[14:15], v[16:17]
	s_branch .LBB18_9
.LBB18_14:
	s_or_b64 exec, exec, s[8:9]
.LBB18_15:
	s_or_b64 exec, exec, s[22:23]
	v_mbcnt_lo_u32_b32 v6, -1, 0
	v_mbcnt_hi_u32_b32 v8, -1, v6
	v_and_b32_e32 v9, 63, v8
	v_cmp_gt_u32_e32 vcc, 48, v9
	s_barrier
	s_nop 0
	v_cndmask_b32_e64 v6, 0, 16, vcc
	v_add_lshl_u32 v7, v6, v8, 2
	ds_bpermute_b32 v6, v7, v0
	ds_bpermute_b32 v7, v7, v1
	v_cmp_gt_u32_e32 vcc, 56, v9
	s_waitcnt lgkmcnt(0)
	v_add_f64 v[0:1], v[0:1], v[6:7]
	v_cndmask_b32_e64 v12, 0, 8, vcc
	v_add_lshl_u32 v7, v12, v8, 2
	ds_bpermute_b32 v6, v7, v0
	ds_bpermute_b32 v7, v7, v1
	v_cmp_gt_u32_e32 vcc, 60, v9
	s_waitcnt lgkmcnt(0)
	v_add_f64 v[0:1], v[0:1], v[6:7]
	;; [unrolled: 7-line block ×3, first 2 shown]
	v_cndmask_b32_e64 v12, 0, 2, vcc
	v_add_lshl_u32 v7, v12, v8, 2
	ds_bpermute_b32 v6, v7, v0
	ds_bpermute_b32 v7, v7, v1
	v_cmp_ne_u32_e32 vcc, 63, v9
	s_waitcnt lgkmcnt(0)
	v_add_f64 v[0:1], v[0:1], v[6:7]
	v_addc_co_u32_e32 v6, vcc, 0, v8, vcc
	v_lshlrev_b32_e32 v7, 2, v6
	ds_bpermute_b32 v6, v7, v0
	ds_bpermute_b32 v7, v7, v1
	s_waitcnt lgkmcnt(0)
	v_add_f64 v[0:1], v[0:1], v[6:7]
	v_mul_f64 v[6:7], v[4:5], v[0:1]
.LBB18_16:
	s_or_b64 exec, exec, s[4:5]
	v_cmp_eq_u32_e32 vcc, 0, v11
	s_and_b64 exec, exec, vcc
	s_cbranch_execz .LBB18_20
; %bb.17:
	s_mul_i32 s0, s31, s3
	s_mul_hi_u32 s1, s30, s3
	s_add_i32 s1, s1, s0
	s_mul_i32 s0, s30, s3
	s_lshl_b64 s[0:1], s[0:1], 3
	s_add_u32 s2, s24, s0
	s_addc_u32 s3, s25, s1
	s_lshl_b64 s[0:1], s[26:27], 3
	s_add_u32 s0, s2, s0
	v_ashrrev_i32_e32 v0, 31, v10
	s_addc_u32 s1, s3, s1
	v_mul_lo_u32 v4, s29, v10
	v_mul_lo_u32 v5, s28, v0
	v_mad_u64_u32 v[0:1], s[2:3], s28, v10, 0
	v_add3_u32 v1, v1, v5, v4
	v_cmp_neq_f64_e32 vcc, 0, v[2:3]
	v_lshl_add_u64 v[0:1], v[0:1], 3, s[0:1]
	s_and_saveexec_b64 s[0:1], vcc
	s_cbranch_execz .LBB18_19
; %bb.18:
	global_load_dwordx2 v[4:5], v[0:1], off
	s_waitcnt vmcnt(0)
	v_fmac_f64_e32 v[6:7], v[2:3], v[4:5]
.LBB18_19:
	s_or_b64 exec, exec, s[0:1]
	global_store_dwordx2 v[0:1], v[6:7], off
.LBB18_20:
	s_endpgm
	.section	.rodata,"a",@progbits
	.p2align	6, 0x0
	.amdhsa_kernel _ZL20rocblas_gbmvt_kernelILi32ELi32E24rocblas_internal_val_ptrIdEPKdPdEvb18rocblas_operation_iiiiT1_T2_lllS7_lllS6_T3_llli
		.amdhsa_group_segment_fixed_size 0
		.amdhsa_private_segment_fixed_size 0
		.amdhsa_kernarg_size 140
		.amdhsa_user_sgpr_count 2
		.amdhsa_user_sgpr_dispatch_ptr 0
		.amdhsa_user_sgpr_queue_ptr 0
		.amdhsa_user_sgpr_kernarg_segment_ptr 1
		.amdhsa_user_sgpr_dispatch_id 0
		.amdhsa_user_sgpr_kernarg_preload_length 0
		.amdhsa_user_sgpr_kernarg_preload_offset 0
		.amdhsa_user_sgpr_private_segment_size 0
		.amdhsa_uses_dynamic_stack 0
		.amdhsa_enable_private_segment 0
		.amdhsa_system_sgpr_workgroup_id_x 1
		.amdhsa_system_sgpr_workgroup_id_y 0
		.amdhsa_system_sgpr_workgroup_id_z 1
		.amdhsa_system_sgpr_workgroup_info 0
		.amdhsa_system_vgpr_workitem_id 1
		.amdhsa_next_free_vgpr 18
		.amdhsa_next_free_sgpr 40
		.amdhsa_accum_offset 20
		.amdhsa_reserve_vcc 1
		.amdhsa_float_round_mode_32 0
		.amdhsa_float_round_mode_16_64 0
		.amdhsa_float_denorm_mode_32 3
		.amdhsa_float_denorm_mode_16_64 3
		.amdhsa_dx10_clamp 1
		.amdhsa_ieee_mode 1
		.amdhsa_fp16_overflow 0
		.amdhsa_tg_split 0
		.amdhsa_exception_fp_ieee_invalid_op 0
		.amdhsa_exception_fp_denorm_src 0
		.amdhsa_exception_fp_ieee_div_zero 0
		.amdhsa_exception_fp_ieee_overflow 0
		.amdhsa_exception_fp_ieee_underflow 0
		.amdhsa_exception_fp_ieee_inexact 0
		.amdhsa_exception_int_div_zero 0
	.end_amdhsa_kernel
	.section	.text._ZL20rocblas_gbmvt_kernelILi32ELi32E24rocblas_internal_val_ptrIdEPKdPdEvb18rocblas_operation_iiiiT1_T2_lllS7_lllS6_T3_llli,"axG",@progbits,_ZL20rocblas_gbmvt_kernelILi32ELi32E24rocblas_internal_val_ptrIdEPKdPdEvb18rocblas_operation_iiiiT1_T2_lllS7_lllS6_T3_llli,comdat
.Lfunc_end18:
	.size	_ZL20rocblas_gbmvt_kernelILi32ELi32E24rocblas_internal_val_ptrIdEPKdPdEvb18rocblas_operation_iiiiT1_T2_lllS7_lllS6_T3_llli, .Lfunc_end18-_ZL20rocblas_gbmvt_kernelILi32ELi32E24rocblas_internal_val_ptrIdEPKdPdEvb18rocblas_operation_iiiiT1_T2_lllS7_lllS6_T3_llli
                                        ; -- End function
	.set _ZL20rocblas_gbmvt_kernelILi32ELi32E24rocblas_internal_val_ptrIdEPKdPdEvb18rocblas_operation_iiiiT1_T2_lllS7_lllS6_T3_llli.num_vgpr, 18
	.set _ZL20rocblas_gbmvt_kernelILi32ELi32E24rocblas_internal_val_ptrIdEPKdPdEvb18rocblas_operation_iiiiT1_T2_lllS7_lllS6_T3_llli.num_agpr, 0
	.set _ZL20rocblas_gbmvt_kernelILi32ELi32E24rocblas_internal_val_ptrIdEPKdPdEvb18rocblas_operation_iiiiT1_T2_lllS7_lllS6_T3_llli.numbered_sgpr, 40
	.set _ZL20rocblas_gbmvt_kernelILi32ELi32E24rocblas_internal_val_ptrIdEPKdPdEvb18rocblas_operation_iiiiT1_T2_lllS7_lllS6_T3_llli.num_named_barrier, 0
	.set _ZL20rocblas_gbmvt_kernelILi32ELi32E24rocblas_internal_val_ptrIdEPKdPdEvb18rocblas_operation_iiiiT1_T2_lllS7_lllS6_T3_llli.private_seg_size, 0
	.set _ZL20rocblas_gbmvt_kernelILi32ELi32E24rocblas_internal_val_ptrIdEPKdPdEvb18rocblas_operation_iiiiT1_T2_lllS7_lllS6_T3_llli.uses_vcc, 1
	.set _ZL20rocblas_gbmvt_kernelILi32ELi32E24rocblas_internal_val_ptrIdEPKdPdEvb18rocblas_operation_iiiiT1_T2_lllS7_lllS6_T3_llli.uses_flat_scratch, 0
	.set _ZL20rocblas_gbmvt_kernelILi32ELi32E24rocblas_internal_val_ptrIdEPKdPdEvb18rocblas_operation_iiiiT1_T2_lllS7_lllS6_T3_llli.has_dyn_sized_stack, 0
	.set _ZL20rocblas_gbmvt_kernelILi32ELi32E24rocblas_internal_val_ptrIdEPKdPdEvb18rocblas_operation_iiiiT1_T2_lllS7_lllS6_T3_llli.has_recursion, 0
	.set _ZL20rocblas_gbmvt_kernelILi32ELi32E24rocblas_internal_val_ptrIdEPKdPdEvb18rocblas_operation_iiiiT1_T2_lllS7_lllS6_T3_llli.has_indirect_call, 0
	.section	.AMDGPU.csdata,"",@progbits
; Kernel info:
; codeLenInByte = 980
; TotalNumSgprs: 46
; NumVgprs: 18
; NumAgprs: 0
; TotalNumVgprs: 18
; ScratchSize: 0
; MemoryBound: 1
; FloatMode: 240
; IeeeMode: 1
; LDSByteSize: 0 bytes/workgroup (compile time only)
; SGPRBlocks: 5
; VGPRBlocks: 2
; NumSGPRsForWavesPerEU: 46
; NumVGPRsForWavesPerEU: 18
; AccumOffset: 20
; Occupancy: 8
; WaveLimiterHint : 0
; COMPUTE_PGM_RSRC2:SCRATCH_EN: 0
; COMPUTE_PGM_RSRC2:USER_SGPR: 2
; COMPUTE_PGM_RSRC2:TRAP_HANDLER: 0
; COMPUTE_PGM_RSRC2:TGID_X_EN: 1
; COMPUTE_PGM_RSRC2:TGID_Y_EN: 0
; COMPUTE_PGM_RSRC2:TGID_Z_EN: 1
; COMPUTE_PGM_RSRC2:TIDIG_COMP_CNT: 1
; COMPUTE_PGM_RSRC3_GFX90A:ACCUM_OFFSET: 4
; COMPUTE_PGM_RSRC3_GFX90A:TG_SPLIT: 0
	.section	.text._ZL20rocblas_gbmvt_kernelILi64ELi16E24rocblas_internal_val_ptrIdEPKdPdEvb18rocblas_operation_iiiiT1_T2_lllS7_lllS6_T3_llli,"axG",@progbits,_ZL20rocblas_gbmvt_kernelILi64ELi16E24rocblas_internal_val_ptrIdEPKdPdEvb18rocblas_operation_iiiiT1_T2_lllS7_lllS6_T3_llli,comdat
	.globl	_ZL20rocblas_gbmvt_kernelILi64ELi16E24rocblas_internal_val_ptrIdEPKdPdEvb18rocblas_operation_iiiiT1_T2_lllS7_lllS6_T3_llli ; -- Begin function _ZL20rocblas_gbmvt_kernelILi64ELi16E24rocblas_internal_val_ptrIdEPKdPdEvb18rocblas_operation_iiiiT1_T2_lllS7_lllS6_T3_llli
	.p2align	8
	.type	_ZL20rocblas_gbmvt_kernelILi64ELi16E24rocblas_internal_val_ptrIdEPKdPdEvb18rocblas_operation_iiiiT1_T2_lllS7_lllS6_T3_llli,@function
_ZL20rocblas_gbmvt_kernelILi64ELi16E24rocblas_internal_val_ptrIdEPKdPdEvb18rocblas_operation_iiiiT1_T2_lllS7_lllS6_T3_llli: ; @_ZL20rocblas_gbmvt_kernelILi64ELi16E24rocblas_internal_val_ptrIdEPKdPdEvb18rocblas_operation_iiiiT1_T2_lllS7_lllS6_T3_llli
; %bb.0:
	s_load_dword s20, s[0:1], 0x0
	s_load_dwordx16 s[4:19], s[0:1], 0x18
	s_waitcnt lgkmcnt(0)
	s_bitcmp1_b32 s20, 0
	s_load_dwordx4 s[28:31], s[0:1], 0x78
	s_load_dwordx8 s[20:27], s[0:1], 0x58
	s_cselect_b64 s[36:37], -1, 0
	s_xor_b64 s[34:35], s[36:37], -1
	s_and_b64 vcc, exec, s[36:37]
	v_mov_b64_e32 v[4:5], s[4:5]
	s_cbranch_vccnz .LBB19_2
; %bb.1:
	v_mov_b64_e32 v[2:3], s[4:5]
	flat_load_dwordx2 v[4:5], v[2:3]
.LBB19_2:
	s_andn2_b64 vcc, exec, s[34:35]
	s_waitcnt lgkmcnt(0)
	v_mov_b64_e32 v[2:3], s[22:23]
	s_cbranch_vccnz .LBB19_4
; %bb.3:
	v_mov_b64_e32 v[2:3], s[22:23]
	flat_load_dwordx2 v[2:3], v[2:3]
.LBB19_4:
	s_waitcnt vmcnt(0)
	v_cmp_neq_f64_e32 vcc, 0, v[4:5]
	s_waitcnt lgkmcnt(0)
	v_cmp_neq_f64_e64 s[4:5], 1.0, v[2:3]
	s_or_b64 s[4:5], vcc, s[4:5]
	s_and_saveexec_b64 s[22:23], s[4:5]
	s_cbranch_execz .LBB19_20
; %bb.5:
	s_load_dwordx4 s[36:39], s[0:1], 0x8
	v_bfe_u32 v1, v0, 10, 10
	v_lshl_add_u32 v10, s2, 4, v1
	s_waitcnt lgkmcnt(0)
	v_cmp_gt_i32_e32 vcc, s37, v10
	s_and_b64 exec, exec, vcc
	s_cbranch_execz .LBB19_20
; %bb.6:
	v_mov_b64_e32 v[6:7], 0
	v_cmp_neq_f64_e32 vcc, 0, v[4:5]
	v_and_b32_e32 v11, 0x3ff, v0
	s_and_saveexec_b64 s[4:5], vcc
	s_cbranch_execz .LBB19_16
; %bb.7:
	s_add_i32 s2, s39, s38
	v_cmp_ge_i32_e32 vcc, s2, v11
	v_mov_b64_e32 v[0:1], 0
	s_and_saveexec_b64 s[22:23], vcc
	s_cbranch_execz .LBB19_15
; %bb.8:
	v_mad_u64_u32 v[0:1], s[0:1], s10, v10, 0
	s_mul_i32 s0, s13, s3
	s_mul_hi_u32 s1, s12, s3
	s_add_i32 s1, s1, s0
	s_mul_i32 s0, s12, s3
	v_ashrrev_i32_e32 v8, 31, v10
	s_lshl_b64 s[0:1], s[0:1], 3
	s_lshl_b64 s[8:9], s[8:9], 3
	v_mul_lo_u32 v6, s11, v10
	v_mul_lo_u32 v7, s10, v8
	s_add_u32 s0, s8, s0
	v_add3_u32 v1, v1, v7, v6
	s_addc_u32 s1, s9, s1
	v_lshl_add_u64 v[0:1], v[0:1], 3, s[0:1]
	v_lshlrev_b32_e32 v6, 3, v11
	v_mov_b32_e32 v7, 0
	v_lshl_add_u64 v[0:1], v[0:1], 0, v[6:7]
	v_sub_u32_e32 v12, s39, v11
	v_lshl_add_u64 v[6:7], s[6:7], 0, v[0:1]
	v_ashrrev_i32_e32 v0, 31, v12
	v_sub_co_u32_e32 v1, vcc, v10, v12
	s_lshl_b64 s[6:7], s[16:17], 3
	s_nop 0
	v_subb_co_u32_e32 v0, vcc, v8, v0, vcc
	v_mul_lo_u32 v8, s19, v1
	v_mul_lo_u32 v9, s18, v0
	v_mad_u64_u32 v[0:1], s[0:1], s18, v1, 0
	s_mul_i32 s0, s21, s3
	s_mul_hi_u32 s1, s20, s3
	s_add_i32 s1, s1, s0
	s_mul_i32 s0, s20, s3
	s_lshl_b64 s[0:1], s[0:1], 3
	s_add_u32 s6, s14, s6
	s_addc_u32 s7, s15, s7
	s_add_u32 s0, s6, s0
	v_add3_u32 v1, v1, v9, v8
	s_addc_u32 s1, s7, s1
	v_lshl_add_u64 v[8:9], v[0:1], 3, s[0:1]
	s_lshl_b64 s[6:7], s[18:19], 9
	v_mov_b64_e32 v[0:1], 0
	s_mov_b64 s[8:9], 0
	s_mov_b64 s[10:11], 0x200
	v_mov_b32_e32 v13, v11
	s_branch .LBB19_11
.LBB19_9:                               ;   in Loop: Header=BB19_11 Depth=1
	s_or_b64 exec, exec, s[0:1]
.LBB19_10:                              ;   in Loop: Header=BB19_11 Depth=1
	s_or_b64 exec, exec, s[12:13]
	v_add_u32_e32 v13, 64, v13
	v_cmp_lt_i32_e32 vcc, s2, v13
	v_lshl_add_u64 v[6:7], v[6:7], 0, s[10:11]
	v_lshl_add_u64 v[8:9], v[8:9], 0, s[6:7]
	s_or_b64 s[8:9], vcc, s[8:9]
	v_subrev_u32_e32 v12, 64, v12
	s_andn2_b64 exec, exec, s[8:9]
	s_cbranch_execz .LBB19_14
.LBB19_11:                              ; =>This Inner Loop Header: Depth=1
	v_add_u32_e32 v14, s36, v12
	v_cmp_lt_i32_e32 vcc, v10, v14
	s_and_saveexec_b64 s[12:13], vcc
	s_cbranch_execz .LBB19_10
; %bb.12:                               ;   in Loop: Header=BB19_11 Depth=1
	v_cmp_lt_i32_e32 vcc, s39, v13
	v_cmp_ge_i32_e64 s[0:1], v10, v12
	s_or_b64 s[14:15], vcc, s[0:1]
	s_and_saveexec_b64 s[0:1], s[14:15]
	s_cbranch_execz .LBB19_9
; %bb.13:                               ;   in Loop: Header=BB19_11 Depth=1
	global_load_dwordx2 v[14:15], v[6:7], off
	global_load_dwordx2 v[16:17], v[8:9], off
	s_waitcnt vmcnt(0)
	v_fmac_f64_e32 v[0:1], v[14:15], v[16:17]
	s_branch .LBB19_9
.LBB19_14:
	s_or_b64 exec, exec, s[8:9]
.LBB19_15:
	s_or_b64 exec, exec, s[22:23]
	v_mbcnt_lo_u32_b32 v6, -1, 0
	v_mbcnt_hi_u32_b32 v8, -1, v6
	v_mov_b32_e32 v6, 0x80
	v_lshl_or_b32 v7, v8, 2, v6
	ds_bpermute_b32 v6, v7, v0
	ds_bpermute_b32 v7, v7, v1
	v_and_b32_e32 v9, 63, v8
	v_cmp_gt_u32_e32 vcc, 48, v9
	s_waitcnt lgkmcnt(0)
	s_barrier
	v_add_f64 v[0:1], v[0:1], v[6:7]
	v_cndmask_b32_e64 v6, 0, 16, vcc
	v_add_lshl_u32 v7, v6, v8, 2
	ds_bpermute_b32 v6, v7, v0
	ds_bpermute_b32 v7, v7, v1
	v_cmp_gt_u32_e32 vcc, 56, v9
	s_waitcnt lgkmcnt(0)
	v_add_f64 v[0:1], v[0:1], v[6:7]
	v_cndmask_b32_e64 v6, 0, 8, vcc
	v_add_lshl_u32 v7, v6, v8, 2
	ds_bpermute_b32 v6, v7, v0
	ds_bpermute_b32 v7, v7, v1
	v_cmp_gt_u32_e32 vcc, 60, v9
	s_waitcnt lgkmcnt(0)
	;; [unrolled: 7-line block ×3, first 2 shown]
	v_add_f64 v[0:1], v[0:1], v[6:7]
	v_cndmask_b32_e64 v6, 0, 2, vcc
	v_add_lshl_u32 v7, v6, v8, 2
	ds_bpermute_b32 v6, v7, v0
	ds_bpermute_b32 v7, v7, v1
	v_cmp_ne_u32_e32 vcc, 63, v9
	s_waitcnt lgkmcnt(0)
	v_add_f64 v[0:1], v[0:1], v[6:7]
	v_addc_co_u32_e32 v6, vcc, 0, v8, vcc
	v_lshlrev_b32_e32 v7, 2, v6
	ds_bpermute_b32 v6, v7, v0
	ds_bpermute_b32 v7, v7, v1
	s_waitcnt lgkmcnt(0)
	v_add_f64 v[0:1], v[0:1], v[6:7]
	v_mul_f64 v[6:7], v[4:5], v[0:1]
.LBB19_16:
	s_or_b64 exec, exec, s[4:5]
	v_cmp_eq_u32_e32 vcc, 0, v11
	s_and_b64 exec, exec, vcc
	s_cbranch_execz .LBB19_20
; %bb.17:
	s_mul_i32 s0, s31, s3
	s_mul_hi_u32 s1, s30, s3
	s_add_i32 s1, s1, s0
	s_mul_i32 s0, s30, s3
	s_lshl_b64 s[0:1], s[0:1], 3
	s_add_u32 s2, s24, s0
	s_addc_u32 s3, s25, s1
	s_lshl_b64 s[0:1], s[26:27], 3
	s_add_u32 s0, s2, s0
	v_ashrrev_i32_e32 v0, 31, v10
	s_addc_u32 s1, s3, s1
	v_mul_lo_u32 v4, s29, v10
	v_mul_lo_u32 v5, s28, v0
	v_mad_u64_u32 v[0:1], s[2:3], s28, v10, 0
	v_add3_u32 v1, v1, v5, v4
	v_cmp_neq_f64_e32 vcc, 0, v[2:3]
	v_lshl_add_u64 v[0:1], v[0:1], 3, s[0:1]
	s_and_saveexec_b64 s[0:1], vcc
	s_cbranch_execz .LBB19_19
; %bb.18:
	global_load_dwordx2 v[4:5], v[0:1], off
	s_waitcnt vmcnt(0)
	v_fmac_f64_e32 v[6:7], v[2:3], v[4:5]
.LBB19_19:
	s_or_b64 exec, exec, s[0:1]
	global_store_dwordx2 v[0:1], v[6:7], off
.LBB19_20:
	s_endpgm
	.section	.rodata,"a",@progbits
	.p2align	6, 0x0
	.amdhsa_kernel _ZL20rocblas_gbmvt_kernelILi64ELi16E24rocblas_internal_val_ptrIdEPKdPdEvb18rocblas_operation_iiiiT1_T2_lllS7_lllS6_T3_llli
		.amdhsa_group_segment_fixed_size 0
		.amdhsa_private_segment_fixed_size 0
		.amdhsa_kernarg_size 140
		.amdhsa_user_sgpr_count 2
		.amdhsa_user_sgpr_dispatch_ptr 0
		.amdhsa_user_sgpr_queue_ptr 0
		.amdhsa_user_sgpr_kernarg_segment_ptr 1
		.amdhsa_user_sgpr_dispatch_id 0
		.amdhsa_user_sgpr_kernarg_preload_length 0
		.amdhsa_user_sgpr_kernarg_preload_offset 0
		.amdhsa_user_sgpr_private_segment_size 0
		.amdhsa_uses_dynamic_stack 0
		.amdhsa_enable_private_segment 0
		.amdhsa_system_sgpr_workgroup_id_x 1
		.amdhsa_system_sgpr_workgroup_id_y 0
		.amdhsa_system_sgpr_workgroup_id_z 1
		.amdhsa_system_sgpr_workgroup_info 0
		.amdhsa_system_vgpr_workitem_id 1
		.amdhsa_next_free_vgpr 18
		.amdhsa_next_free_sgpr 40
		.amdhsa_accum_offset 20
		.amdhsa_reserve_vcc 1
		.amdhsa_float_round_mode_32 0
		.amdhsa_float_round_mode_16_64 0
		.amdhsa_float_denorm_mode_32 3
		.amdhsa_float_denorm_mode_16_64 3
		.amdhsa_dx10_clamp 1
		.amdhsa_ieee_mode 1
		.amdhsa_fp16_overflow 0
		.amdhsa_tg_split 0
		.amdhsa_exception_fp_ieee_invalid_op 0
		.amdhsa_exception_fp_denorm_src 0
		.amdhsa_exception_fp_ieee_div_zero 0
		.amdhsa_exception_fp_ieee_overflow 0
		.amdhsa_exception_fp_ieee_underflow 0
		.amdhsa_exception_fp_ieee_inexact 0
		.amdhsa_exception_int_div_zero 0
	.end_amdhsa_kernel
	.section	.text._ZL20rocblas_gbmvt_kernelILi64ELi16E24rocblas_internal_val_ptrIdEPKdPdEvb18rocblas_operation_iiiiT1_T2_lllS7_lllS6_T3_llli,"axG",@progbits,_ZL20rocblas_gbmvt_kernelILi64ELi16E24rocblas_internal_val_ptrIdEPKdPdEvb18rocblas_operation_iiiiT1_T2_lllS7_lllS6_T3_llli,comdat
.Lfunc_end19:
	.size	_ZL20rocblas_gbmvt_kernelILi64ELi16E24rocblas_internal_val_ptrIdEPKdPdEvb18rocblas_operation_iiiiT1_T2_lllS7_lllS6_T3_llli, .Lfunc_end19-_ZL20rocblas_gbmvt_kernelILi64ELi16E24rocblas_internal_val_ptrIdEPKdPdEvb18rocblas_operation_iiiiT1_T2_lllS7_lllS6_T3_llli
                                        ; -- End function
	.set _ZL20rocblas_gbmvt_kernelILi64ELi16E24rocblas_internal_val_ptrIdEPKdPdEvb18rocblas_operation_iiiiT1_T2_lllS7_lllS6_T3_llli.num_vgpr, 18
	.set _ZL20rocblas_gbmvt_kernelILi64ELi16E24rocblas_internal_val_ptrIdEPKdPdEvb18rocblas_operation_iiiiT1_T2_lllS7_lllS6_T3_llli.num_agpr, 0
	.set _ZL20rocblas_gbmvt_kernelILi64ELi16E24rocblas_internal_val_ptrIdEPKdPdEvb18rocblas_operation_iiiiT1_T2_lllS7_lllS6_T3_llli.numbered_sgpr, 40
	.set _ZL20rocblas_gbmvt_kernelILi64ELi16E24rocblas_internal_val_ptrIdEPKdPdEvb18rocblas_operation_iiiiT1_T2_lllS7_lllS6_T3_llli.num_named_barrier, 0
	.set _ZL20rocblas_gbmvt_kernelILi64ELi16E24rocblas_internal_val_ptrIdEPKdPdEvb18rocblas_operation_iiiiT1_T2_lllS7_lllS6_T3_llli.private_seg_size, 0
	.set _ZL20rocblas_gbmvt_kernelILi64ELi16E24rocblas_internal_val_ptrIdEPKdPdEvb18rocblas_operation_iiiiT1_T2_lllS7_lllS6_T3_llli.uses_vcc, 1
	.set _ZL20rocblas_gbmvt_kernelILi64ELi16E24rocblas_internal_val_ptrIdEPKdPdEvb18rocblas_operation_iiiiT1_T2_lllS7_lllS6_T3_llli.uses_flat_scratch, 0
	.set _ZL20rocblas_gbmvt_kernelILi64ELi16E24rocblas_internal_val_ptrIdEPKdPdEvb18rocblas_operation_iiiiT1_T2_lllS7_lllS6_T3_llli.has_dyn_sized_stack, 0
	.set _ZL20rocblas_gbmvt_kernelILi64ELi16E24rocblas_internal_val_ptrIdEPKdPdEvb18rocblas_operation_iiiiT1_T2_lllS7_lllS6_T3_llli.has_recursion, 0
	.set _ZL20rocblas_gbmvt_kernelILi64ELi16E24rocblas_internal_val_ptrIdEPKdPdEvb18rocblas_operation_iiiiT1_T2_lllS7_lllS6_T3_llli.has_indirect_call, 0
	.section	.AMDGPU.csdata,"",@progbits
; Kernel info:
; codeLenInByte = 1020
; TotalNumSgprs: 46
; NumVgprs: 18
; NumAgprs: 0
; TotalNumVgprs: 18
; ScratchSize: 0
; MemoryBound: 1
; FloatMode: 240
; IeeeMode: 1
; LDSByteSize: 0 bytes/workgroup (compile time only)
; SGPRBlocks: 5
; VGPRBlocks: 2
; NumSGPRsForWavesPerEU: 46
; NumVGPRsForWavesPerEU: 18
; AccumOffset: 20
; Occupancy: 8
; WaveLimiterHint : 0
; COMPUTE_PGM_RSRC2:SCRATCH_EN: 0
; COMPUTE_PGM_RSRC2:USER_SGPR: 2
; COMPUTE_PGM_RSRC2:TRAP_HANDLER: 0
; COMPUTE_PGM_RSRC2:TGID_X_EN: 1
; COMPUTE_PGM_RSRC2:TGID_Y_EN: 0
; COMPUTE_PGM_RSRC2:TGID_Z_EN: 1
; COMPUTE_PGM_RSRC2:TIDIG_COMP_CNT: 1
; COMPUTE_PGM_RSRC3_GFX90A:ACCUM_OFFSET: 4
; COMPUTE_PGM_RSRC3_GFX90A:TG_SPLIT: 0
	.section	.text._ZL20rocblas_gbmvn_kernelILi32ELi32E24rocblas_internal_val_ptrI19rocblas_complex_numIfEEPKS2_PS2_EvbiiiiT1_T2_lllS8_lllS7_T3_llli,"axG",@progbits,_ZL20rocblas_gbmvn_kernelILi32ELi32E24rocblas_internal_val_ptrI19rocblas_complex_numIfEEPKS2_PS2_EvbiiiiT1_T2_lllS8_lllS7_T3_llli,comdat
	.globl	_ZL20rocblas_gbmvn_kernelILi32ELi32E24rocblas_internal_val_ptrI19rocblas_complex_numIfEEPKS2_PS2_EvbiiiiT1_T2_lllS8_lllS7_T3_llli ; -- Begin function _ZL20rocblas_gbmvn_kernelILi32ELi32E24rocblas_internal_val_ptrI19rocblas_complex_numIfEEPKS2_PS2_EvbiiiiT1_T2_lllS8_lllS7_T3_llli
	.p2align	8
	.type	_ZL20rocblas_gbmvn_kernelILi32ELi32E24rocblas_internal_val_ptrI19rocblas_complex_numIfEEPKS2_PS2_EvbiiiiT1_T2_lllS8_lllS7_T3_llli,@function
_ZL20rocblas_gbmvn_kernelILi32ELi32E24rocblas_internal_val_ptrI19rocblas_complex_numIfEEPKS2_PS2_EvbiiiiT1_T2_lllS8_lllS7_T3_llli: ; @_ZL20rocblas_gbmvn_kernelILi32ELi32E24rocblas_internal_val_ptrI19rocblas_complex_numIfEEPKS2_PS2_EvbiiiiT1_T2_lllS8_lllS7_T3_llli
; %bb.0:
	s_load_dwordx4 s[36:39], s[0:1], 0x0
	s_load_dwordx16 s[4:19], s[0:1], 0x18
	s_load_dwordx4 s[28:31], s[0:1], 0x78
	s_load_dwordx8 s[20:27], s[0:1], 0x58
	s_mov_b64 s[42:43], -1
	s_waitcnt lgkmcnt(0)
	s_bitcmp1_b32 s36, 0
	s_cselect_b64 s[34:35], -1, 0
	s_xor_b64 s[40:41], s[34:35], -1
	s_and_b64 vcc, exec, s[40:41]
                                        ; implicit-def: $sgpr34_sgpr35
	s_cbranch_vccnz .LBB20_4
; %bb.1:
	s_andn2_b64 vcc, exec, s[42:43]
	s_cbranch_vccz .LBB20_5
.LBB20_2:
	s_and_b64 vcc, exec, s[40:41]
	s_cbranch_vccz .LBB20_6
.LBB20_3:
	s_load_dwordx2 s[4:5], s[22:23], 0x0
	s_cbranch_execz .LBB20_7
	s_branch .LBB20_8
.LBB20_4:
	s_load_dwordx2 s[34:35], s[4:5], 0x0
	s_cbranch_execnz .LBB20_2
.LBB20_5:
	s_waitcnt lgkmcnt(0)
	s_mov_b64 s[34:35], s[4:5]
	s_and_b64 vcc, exec, s[40:41]
	s_cbranch_vccnz .LBB20_3
.LBB20_6:
                                        ; implicit-def: $sgpr4_sgpr5
.LBB20_7:
	s_waitcnt lgkmcnt(0)
	s_mov_b64 s[4:5], s[22:23]
.LBB20_8:
	s_waitcnt lgkmcnt(0)
	v_cmp_neq_f32_e64 s[22:23], s34, 0
	v_cmp_neq_f32_e64 s[40:41], s35, 0
	s_or_b64 s[22:23], s[22:23], s[40:41]
	s_mov_b64 s[40:41], -1
	s_and_b64 vcc, exec, s[22:23]
	s_cbranch_vccnz .LBB20_10
; %bb.9:
	s_and_b32 s33, s5, 0x7fffffff
	s_cmp_lg_u32 s33, 0
	v_cmp_neq_f32_e64 s[40:41], s4, 1.0
	s_cselect_b64 s[42:43], -1, 0
	s_or_b64 s[40:41], s[40:41], s[42:43]
.LBB20_10:
	s_andn2_b64 vcc, exec, s[40:41]
	s_cbranch_vccnz .LBB20_15
; %bb.11:
	s_load_dword s33, s[0:1], 0x10
	v_bfe_u32 v1, v0, 10, 10
	v_lshl_add_u32 v6, s2, 5, v1
	v_cmp_gt_i32_e32 vcc, s37, v6
	s_and_saveexec_b64 s[0:1], vcc
	s_cbranch_execz .LBB20_15
; %bb.12:
	s_xor_b64 s[0:1], s[22:23], -1
	s_andn2_b64 vcc, exec, s[0:1]
	s_cbranch_vccnz .LBB20_16
; %bb.13:
	v_and_b32_e32 v7, 0x3ff, v0
	s_cbranch_execz .LBB20_17
; %bb.14:
	v_mov_b32_e32 v0, 0
	v_mov_b32_e32 v1, v0
	v_cmp_eq_u32_e32 vcc, 0, v7
	s_and_b64 exec, exec, vcc
	s_cbranch_execnz .LBB20_24
.LBB20_15:
	s_endpgm
.LBB20_16:
                                        ; implicit-def: $vgpr7
.LBB20_17:
	v_and_b32_e32 v7, 0x3ff, v0
	v_min_i32_e32 v4, s39, v6
	s_waitcnt lgkmcnt(0)
	v_sub_u32_e32 v0, s33, v7
	v_add_u32_e32 v0, v0, v4
	v_cmp_lt_i32_e32 vcc, -1, v0
	v_mov_b32_e32 v1, 0
	v_mov_b32_e32 v9, 0
	s_and_saveexec_b64 s[0:1], vcc
	s_cbranch_execz .LBB20_23
; %bb.18:
	v_subrev_u32_e32 v1, s39, v6
	v_max_i32_e32 v1, 0, v1
	s_mul_i32 s2, s13, s3
	s_mul_hi_u32 s13, s12, s3
	v_add_u32_e32 v8, v1, v7
	s_add_i32 s13, s13, s2
	s_mul_i32 s12, s12, s3
	v_ashrrev_i32_e32 v5, 31, v8
	s_lshl_b64 s[12:13], s[12:13], 3
	s_lshl_b64 s[8:9], s[8:9], 3
	v_mul_lo_u32 v1, s10, v5
	v_mul_lo_u32 v9, s11, v8
	v_mad_u64_u32 v[2:3], s[22:23], s10, v8, 0
	s_add_u32 s8, s8, s12
	v_add3_u32 v3, v3, v1, v9
	s_addc_u32 s9, s9, s13
	v_lshl_add_u64 v[2:3], v[2:3], 3, s[8:9]
	v_mov_b32_e32 v1, 0
	v_lshl_add_u64 v[2:3], v[0:1], 3, v[2:3]
	v_lshl_add_u64 v[2:3], s[6:7], 0, v[2:3]
	s_lshl_b64 s[6:7], s[10:11], 8
	v_add_u32_e32 v0, s33, v4
	v_mul_lo_u32 v9, s18, v5
	v_mad_u64_u32 v[4:5], s[8:9], s18, v8, 0
	s_add_u32 s6, s6, 0xffffff00
	s_mul_i32 s2, s21, s3
	s_mul_hi_u32 s8, s20, s3
	s_addc_u32 s7, s7, -1
	s_add_i32 s9, s8, s2
	s_mul_i32 s8, s20, s3
	s_lshl_b64 s[8:9], s[8:9], 3
	s_lshl_b64 s[10:11], s[16:17], 3
	s_add_u32 s2, s14, s10
	s_addc_u32 s10, s15, s11
	v_mul_lo_u32 v10, s19, v8
	s_add_u32 s8, s2, s8
	v_add3_u32 v5, v5, v9, v10
	s_addc_u32 s9, s10, s9
	v_sub_u32_e32 v0, v0, v7
	v_lshl_add_u64 v[4:5], v[4:5], 3, s[8:9]
	v_add_u32_e32 v0, 32, v0
	v_lshl_add_u64 v[4:5], v[4:5], 0, 4
	s_lshl_b64 s[10:11], s[18:19], 8
	s_mov_b64 s[8:9], 0
	v_mov_b32_e32 v9, v1
	s_branch .LBB20_20
.LBB20_19:                              ;   in Loop: Header=BB20_20 Depth=1
	s_or_b64 exec, exec, s[12:13]
	v_subrev_u32_e32 v0, 32, v0
	v_cmp_gt_u32_e32 vcc, 32, v0
	v_add_u32_e32 v8, 32, v8
	v_lshl_add_u64 v[2:3], v[2:3], 0, s[6:7]
	s_or_b64 s[8:9], vcc, s[8:9]
	v_lshl_add_u64 v[4:5], v[4:5], 0, s[10:11]
	s_andn2_b64 exec, exec, s[8:9]
	s_cbranch_execz .LBB20_22
.LBB20_20:                              ; =>This Inner Loop Header: Depth=1
	v_cmp_gt_i32_e32 vcc, s38, v8
	s_and_saveexec_b64 s[12:13], vcc
	s_cbranch_execz .LBB20_19
; %bb.21:                               ;   in Loop: Header=BB20_20 Depth=1
	global_load_dwordx2 v[10:11], v[2:3], off
	global_load_dwordx2 v[12:13], v[4:5], off offset:-4
	s_waitcnt vmcnt(0)
	v_mul_f32_e32 v14, v13, v11
	v_mul_f32_e32 v11, v12, v11
	v_fma_f32 v12, v12, v10, -v14
	v_fmac_f32_e32 v11, v13, v10
	v_add_f32_e32 v9, v9, v12
	v_add_f32_e32 v1, v1, v11
	s_branch .LBB20_19
.LBB20_22:
	s_or_b64 exec, exec, s[8:9]
.LBB20_23:
	s_or_b64 exec, exec, s[0:1]
	v_mbcnt_lo_u32_b32 v0, -1, 0
	v_mbcnt_hi_u32_b32 v0, -1, v0
	v_and_b32_e32 v2, 63, v0
	v_cmp_gt_u32_e32 vcc, 48, v2
	s_barrier
	s_nop 0
	v_cndmask_b32_e64 v3, 0, 16, vcc
	v_add_lshl_u32 v3, v3, v0, 2
	ds_bpermute_b32 v4, v3, v9
	ds_bpermute_b32 v3, v3, v1
	v_cmp_gt_u32_e32 vcc, 56, v2
	s_waitcnt lgkmcnt(0)
	v_add_f32_e32 v4, v9, v4
	v_add_f32_e32 v1, v1, v3
	v_cndmask_b32_e64 v3, 0, 8, vcc
	v_add_lshl_u32 v3, v3, v0, 2
	ds_bpermute_b32 v5, v3, v4
	ds_bpermute_b32 v3, v3, v1
	v_cmp_gt_u32_e32 vcc, 60, v2
	s_waitcnt lgkmcnt(1)
	v_add_f32_e32 v4, v4, v5
	s_waitcnt lgkmcnt(0)
	v_add_f32_e32 v1, v1, v3
	v_cndmask_b32_e64 v3, 0, 4, vcc
	v_add_lshl_u32 v3, v3, v0, 2
	ds_bpermute_b32 v5, v3, v4
	ds_bpermute_b32 v3, v3, v1
	v_cmp_gt_u32_e32 vcc, 62, v2
	s_waitcnt lgkmcnt(1)
	v_add_f32_e32 v4, v4, v5
	s_waitcnt lgkmcnt(0)
	v_add_f32_e32 v1, v1, v3
	v_cndmask_b32_e64 v3, 0, 2, vcc
	v_add_lshl_u32 v3, v3, v0, 2
	ds_bpermute_b32 v5, v3, v4
	ds_bpermute_b32 v3, v3, v1
	v_cmp_ne_u32_e32 vcc, 63, v2
	s_waitcnt lgkmcnt(1)
	v_add_f32_e32 v4, v4, v5
	v_addc_co_u32_e32 v0, vcc, 0, v0, vcc
	s_waitcnt lgkmcnt(0)
	v_add_f32_e32 v1, v1, v3
	v_lshlrev_b32_e32 v0, 2, v0
	ds_bpermute_b32 v2, v0, v4
	ds_bpermute_b32 v0, v0, v1
	s_waitcnt lgkmcnt(1)
	v_add_f32_e32 v2, v4, v2
	s_waitcnt lgkmcnt(0)
	v_add_f32_e32 v0, v1, v0
	v_pk_mul_f32 v[4:5], s[34:35], v[0:1] op_sel:[1,0] op_sel_hi:[0,0]
	v_pk_fma_f32 v[0:1], s[34:35], v[2:3], v[4:5] neg_lo:[0,0,1] neg_hi:[0,0,1]
	v_pk_fma_f32 v[2:3], s[34:35], v[2:3], v[4:5] op_sel_hi:[1,0,1]
	s_nop 0
	v_mov_b32_e32 v1, v3
	v_cmp_eq_u32_e32 vcc, 0, v7
	s_and_b64 exec, exec, vcc
	s_cbranch_execz .LBB20_15
.LBB20_24:
	s_mul_i32 s0, s31, s3
	s_mul_hi_u32 s1, s30, s3
	s_add_i32 s1, s1, s0
	s_mul_i32 s0, s30, s3
	s_lshl_b64 s[0:1], s[0:1], 3
	s_add_u32 s2, s24, s0
	s_addc_u32 s3, s25, s1
	s_lshl_b64 s[0:1], s[26:27], 3
	s_add_u32 s0, s2, s0
	s_addc_u32 s1, s3, s1
	s_or_b32 s2, s4, s5
	v_ashrrev_i32_e32 v2, 31, v6
	s_and_b32 s6, s2, 0x7fffffff
	v_mul_lo_u32 v4, s29, v6
	v_mul_lo_u32 v5, s28, v2
	v_mad_u64_u32 v[2:3], s[2:3], s28, v6, 0
	v_add3_u32 v3, v3, v5, v4
	s_cmp_eq_u32 s6, 0
	v_lshl_add_u64 v[2:3], v[2:3], 3, s[0:1]
	s_cbranch_scc1 .LBB20_26
; %bb.25:
	global_load_dwordx2 v[4:5], v[2:3], off
	s_waitcnt vmcnt(0)
	v_pk_mul_f32 v[6:7], v[4:5], s[4:5] op_sel:[1,1] op_sel_hi:[0,1]
	v_pk_fma_f32 v[8:9], v[4:5], s[4:5], v[6:7] neg_lo:[0,0,1] neg_hi:[0,0,1]
	v_pk_fma_f32 v[4:5], v[4:5], s[4:5], v[6:7] op_sel_hi:[1,0,1]
	s_nop 0
	v_mov_b32_e32 v9, v5
	v_pk_add_f32 v[0:1], v[0:1], v[8:9]
.LBB20_26:
	global_store_dwordx2 v[2:3], v[0:1], off
	s_endpgm
	.section	.rodata,"a",@progbits
	.p2align	6, 0x0
	.amdhsa_kernel _ZL20rocblas_gbmvn_kernelILi32ELi32E24rocblas_internal_val_ptrI19rocblas_complex_numIfEEPKS2_PS2_EvbiiiiT1_T2_lllS8_lllS7_T3_llli
		.amdhsa_group_segment_fixed_size 0
		.amdhsa_private_segment_fixed_size 0
		.amdhsa_kernarg_size 140
		.amdhsa_user_sgpr_count 2
		.amdhsa_user_sgpr_dispatch_ptr 0
		.amdhsa_user_sgpr_queue_ptr 0
		.amdhsa_user_sgpr_kernarg_segment_ptr 1
		.amdhsa_user_sgpr_dispatch_id 0
		.amdhsa_user_sgpr_kernarg_preload_length 0
		.amdhsa_user_sgpr_kernarg_preload_offset 0
		.amdhsa_user_sgpr_private_segment_size 0
		.amdhsa_uses_dynamic_stack 0
		.amdhsa_enable_private_segment 0
		.amdhsa_system_sgpr_workgroup_id_x 1
		.amdhsa_system_sgpr_workgroup_id_y 0
		.amdhsa_system_sgpr_workgroup_id_z 1
		.amdhsa_system_sgpr_workgroup_info 0
		.amdhsa_system_vgpr_workitem_id 1
		.amdhsa_next_free_vgpr 15
		.amdhsa_next_free_sgpr 44
		.amdhsa_accum_offset 16
		.amdhsa_reserve_vcc 1
		.amdhsa_float_round_mode_32 0
		.amdhsa_float_round_mode_16_64 0
		.amdhsa_float_denorm_mode_32 3
		.amdhsa_float_denorm_mode_16_64 3
		.amdhsa_dx10_clamp 1
		.amdhsa_ieee_mode 1
		.amdhsa_fp16_overflow 0
		.amdhsa_tg_split 0
		.amdhsa_exception_fp_ieee_invalid_op 0
		.amdhsa_exception_fp_denorm_src 0
		.amdhsa_exception_fp_ieee_div_zero 0
		.amdhsa_exception_fp_ieee_overflow 0
		.amdhsa_exception_fp_ieee_underflow 0
		.amdhsa_exception_fp_ieee_inexact 0
		.amdhsa_exception_int_div_zero 0
	.end_amdhsa_kernel
	.section	.text._ZL20rocblas_gbmvn_kernelILi32ELi32E24rocblas_internal_val_ptrI19rocblas_complex_numIfEEPKS2_PS2_EvbiiiiT1_T2_lllS8_lllS7_T3_llli,"axG",@progbits,_ZL20rocblas_gbmvn_kernelILi32ELi32E24rocblas_internal_val_ptrI19rocblas_complex_numIfEEPKS2_PS2_EvbiiiiT1_T2_lllS8_lllS7_T3_llli,comdat
.Lfunc_end20:
	.size	_ZL20rocblas_gbmvn_kernelILi32ELi32E24rocblas_internal_val_ptrI19rocblas_complex_numIfEEPKS2_PS2_EvbiiiiT1_T2_lllS8_lllS7_T3_llli, .Lfunc_end20-_ZL20rocblas_gbmvn_kernelILi32ELi32E24rocblas_internal_val_ptrI19rocblas_complex_numIfEEPKS2_PS2_EvbiiiiT1_T2_lllS8_lllS7_T3_llli
                                        ; -- End function
	.set _ZL20rocblas_gbmvn_kernelILi32ELi32E24rocblas_internal_val_ptrI19rocblas_complex_numIfEEPKS2_PS2_EvbiiiiT1_T2_lllS8_lllS7_T3_llli.num_vgpr, 15
	.set _ZL20rocblas_gbmvn_kernelILi32ELi32E24rocblas_internal_val_ptrI19rocblas_complex_numIfEEPKS2_PS2_EvbiiiiT1_T2_lllS8_lllS7_T3_llli.num_agpr, 0
	.set _ZL20rocblas_gbmvn_kernelILi32ELi32E24rocblas_internal_val_ptrI19rocblas_complex_numIfEEPKS2_PS2_EvbiiiiT1_T2_lllS8_lllS7_T3_llli.numbered_sgpr, 44
	.set _ZL20rocblas_gbmvn_kernelILi32ELi32E24rocblas_internal_val_ptrI19rocblas_complex_numIfEEPKS2_PS2_EvbiiiiT1_T2_lllS8_lllS7_T3_llli.num_named_barrier, 0
	.set _ZL20rocblas_gbmvn_kernelILi32ELi32E24rocblas_internal_val_ptrI19rocblas_complex_numIfEEPKS2_PS2_EvbiiiiT1_T2_lllS8_lllS7_T3_llli.private_seg_size, 0
	.set _ZL20rocblas_gbmvn_kernelILi32ELi32E24rocblas_internal_val_ptrI19rocblas_complex_numIfEEPKS2_PS2_EvbiiiiT1_T2_lllS8_lllS7_T3_llli.uses_vcc, 1
	.set _ZL20rocblas_gbmvn_kernelILi32ELi32E24rocblas_internal_val_ptrI19rocblas_complex_numIfEEPKS2_PS2_EvbiiiiT1_T2_lllS8_lllS7_T3_llli.uses_flat_scratch, 0
	.set _ZL20rocblas_gbmvn_kernelILi32ELi32E24rocblas_internal_val_ptrI19rocblas_complex_numIfEEPKS2_PS2_EvbiiiiT1_T2_lllS8_lllS7_T3_llli.has_dyn_sized_stack, 0
	.set _ZL20rocblas_gbmvn_kernelILi32ELi32E24rocblas_internal_val_ptrI19rocblas_complex_numIfEEPKS2_PS2_EvbiiiiT1_T2_lllS8_lllS7_T3_llli.has_recursion, 0
	.set _ZL20rocblas_gbmvn_kernelILi32ELi32E24rocblas_internal_val_ptrI19rocblas_complex_numIfEEPKS2_PS2_EvbiiiiT1_T2_lllS8_lllS7_T3_llli.has_indirect_call, 0
	.section	.AMDGPU.csdata,"",@progbits
; Kernel info:
; codeLenInByte = 1172
; TotalNumSgprs: 50
; NumVgprs: 15
; NumAgprs: 0
; TotalNumVgprs: 15
; ScratchSize: 0
; MemoryBound: 0
; FloatMode: 240
; IeeeMode: 1
; LDSByteSize: 0 bytes/workgroup (compile time only)
; SGPRBlocks: 6
; VGPRBlocks: 1
; NumSGPRsForWavesPerEU: 50
; NumVGPRsForWavesPerEU: 15
; AccumOffset: 16
; Occupancy: 8
; WaveLimiterHint : 0
; COMPUTE_PGM_RSRC2:SCRATCH_EN: 0
; COMPUTE_PGM_RSRC2:USER_SGPR: 2
; COMPUTE_PGM_RSRC2:TRAP_HANDLER: 0
; COMPUTE_PGM_RSRC2:TGID_X_EN: 1
; COMPUTE_PGM_RSRC2:TGID_Y_EN: 0
; COMPUTE_PGM_RSRC2:TGID_Z_EN: 1
; COMPUTE_PGM_RSRC2:TIDIG_COMP_CNT: 1
; COMPUTE_PGM_RSRC3_GFX90A:ACCUM_OFFSET: 3
; COMPUTE_PGM_RSRC3_GFX90A:TG_SPLIT: 0
	.section	.text._ZL20rocblas_gbmvn_kernelILi64ELi16E24rocblas_internal_val_ptrI19rocblas_complex_numIfEEPKS2_PS2_EvbiiiiT1_T2_lllS8_lllS7_T3_llli,"axG",@progbits,_ZL20rocblas_gbmvn_kernelILi64ELi16E24rocblas_internal_val_ptrI19rocblas_complex_numIfEEPKS2_PS2_EvbiiiiT1_T2_lllS8_lllS7_T3_llli,comdat
	.globl	_ZL20rocblas_gbmvn_kernelILi64ELi16E24rocblas_internal_val_ptrI19rocblas_complex_numIfEEPKS2_PS2_EvbiiiiT1_T2_lllS8_lllS7_T3_llli ; -- Begin function _ZL20rocblas_gbmvn_kernelILi64ELi16E24rocblas_internal_val_ptrI19rocblas_complex_numIfEEPKS2_PS2_EvbiiiiT1_T2_lllS8_lllS7_T3_llli
	.p2align	8
	.type	_ZL20rocblas_gbmvn_kernelILi64ELi16E24rocblas_internal_val_ptrI19rocblas_complex_numIfEEPKS2_PS2_EvbiiiiT1_T2_lllS8_lllS7_T3_llli,@function
_ZL20rocblas_gbmvn_kernelILi64ELi16E24rocblas_internal_val_ptrI19rocblas_complex_numIfEEPKS2_PS2_EvbiiiiT1_T2_lllS8_lllS7_T3_llli: ; @_ZL20rocblas_gbmvn_kernelILi64ELi16E24rocblas_internal_val_ptrI19rocblas_complex_numIfEEPKS2_PS2_EvbiiiiT1_T2_lllS8_lllS7_T3_llli
; %bb.0:
	s_load_dwordx4 s[36:39], s[0:1], 0x0
	s_load_dwordx16 s[4:19], s[0:1], 0x18
	s_load_dwordx4 s[28:31], s[0:1], 0x78
	s_load_dwordx8 s[20:27], s[0:1], 0x58
	s_mov_b64 s[42:43], -1
	s_waitcnt lgkmcnt(0)
	s_bitcmp1_b32 s36, 0
	s_cselect_b64 s[34:35], -1, 0
	s_xor_b64 s[40:41], s[34:35], -1
	s_and_b64 vcc, exec, s[40:41]
                                        ; implicit-def: $sgpr34_sgpr35
	s_cbranch_vccnz .LBB21_4
; %bb.1:
	s_andn2_b64 vcc, exec, s[42:43]
	s_cbranch_vccz .LBB21_5
.LBB21_2:
	s_and_b64 vcc, exec, s[40:41]
	s_cbranch_vccz .LBB21_6
.LBB21_3:
	s_load_dwordx2 s[4:5], s[22:23], 0x0
	s_cbranch_execz .LBB21_7
	s_branch .LBB21_8
.LBB21_4:
	s_load_dwordx2 s[34:35], s[4:5], 0x0
	s_cbranch_execnz .LBB21_2
.LBB21_5:
	s_waitcnt lgkmcnt(0)
	s_mov_b64 s[34:35], s[4:5]
	s_and_b64 vcc, exec, s[40:41]
	s_cbranch_vccnz .LBB21_3
.LBB21_6:
                                        ; implicit-def: $sgpr4_sgpr5
.LBB21_7:
	s_waitcnt lgkmcnt(0)
	s_mov_b64 s[4:5], s[22:23]
.LBB21_8:
	s_waitcnt lgkmcnt(0)
	v_cmp_neq_f32_e64 s[22:23], s34, 0
	v_cmp_neq_f32_e64 s[40:41], s35, 0
	s_or_b64 s[22:23], s[22:23], s[40:41]
	s_mov_b64 s[40:41], -1
	s_and_b64 vcc, exec, s[22:23]
	s_cbranch_vccnz .LBB21_10
; %bb.9:
	s_and_b32 s33, s5, 0x7fffffff
	s_cmp_lg_u32 s33, 0
	v_cmp_neq_f32_e64 s[40:41], s4, 1.0
	s_cselect_b64 s[42:43], -1, 0
	s_or_b64 s[40:41], s[40:41], s[42:43]
.LBB21_10:
	s_andn2_b64 vcc, exec, s[40:41]
	s_cbranch_vccnz .LBB21_15
; %bb.11:
	s_load_dword s33, s[0:1], 0x10
	v_bfe_u32 v1, v0, 10, 10
	v_lshl_add_u32 v6, s2, 4, v1
	v_cmp_gt_i32_e32 vcc, s37, v6
	s_and_saveexec_b64 s[0:1], vcc
	s_cbranch_execz .LBB21_15
; %bb.12:
	s_xor_b64 s[0:1], s[22:23], -1
	s_andn2_b64 vcc, exec, s[0:1]
	s_cbranch_vccnz .LBB21_16
; %bb.13:
	v_and_b32_e32 v7, 0x3ff, v0
	s_cbranch_execz .LBB21_17
; %bb.14:
	v_mov_b32_e32 v0, 0
	v_mov_b32_e32 v1, v0
	v_cmp_eq_u32_e32 vcc, 0, v7
	s_and_b64 exec, exec, vcc
	s_cbranch_execnz .LBB21_24
.LBB21_15:
	s_endpgm
.LBB21_16:
                                        ; implicit-def: $vgpr7
.LBB21_17:
	v_and_b32_e32 v7, 0x3ff, v0
	v_min_i32_e32 v4, s39, v6
	s_waitcnt lgkmcnt(0)
	v_sub_u32_e32 v0, s33, v7
	v_add_u32_e32 v0, v0, v4
	v_cmp_lt_i32_e32 vcc, -1, v0
	v_mov_b32_e32 v1, 0
	v_mov_b32_e32 v9, 0
	s_and_saveexec_b64 s[0:1], vcc
	s_cbranch_execz .LBB21_23
; %bb.18:
	v_subrev_u32_e32 v1, s39, v6
	v_max_i32_e32 v1, 0, v1
	s_mul_i32 s2, s13, s3
	s_mul_hi_u32 s13, s12, s3
	v_add_u32_e32 v8, v1, v7
	s_add_i32 s13, s13, s2
	s_mul_i32 s12, s12, s3
	v_ashrrev_i32_e32 v5, 31, v8
	s_lshl_b64 s[12:13], s[12:13], 3
	s_lshl_b64 s[8:9], s[8:9], 3
	v_mul_lo_u32 v1, s10, v5
	v_mul_lo_u32 v9, s11, v8
	v_mad_u64_u32 v[2:3], s[22:23], s10, v8, 0
	s_add_u32 s8, s8, s12
	v_add3_u32 v3, v3, v1, v9
	s_addc_u32 s9, s9, s13
	v_lshl_add_u64 v[2:3], v[2:3], 3, s[8:9]
	v_mov_b32_e32 v1, 0
	v_lshl_add_u64 v[2:3], v[0:1], 3, v[2:3]
	v_lshl_add_u64 v[2:3], s[6:7], 0, v[2:3]
	s_lshl_b64 s[6:7], s[10:11], 9
	v_add_u32_e32 v0, s33, v4
	v_mul_lo_u32 v9, s18, v5
	v_mad_u64_u32 v[4:5], s[8:9], s18, v8, 0
	s_add_u32 s6, s6, 0xfffffe00
	s_mul_i32 s2, s21, s3
	s_mul_hi_u32 s8, s20, s3
	s_addc_u32 s7, s7, -1
	s_add_i32 s9, s8, s2
	s_mul_i32 s8, s20, s3
	s_lshl_b64 s[8:9], s[8:9], 3
	s_lshl_b64 s[10:11], s[16:17], 3
	s_add_u32 s2, s14, s10
	s_addc_u32 s10, s15, s11
	v_mul_lo_u32 v10, s19, v8
	s_add_u32 s8, s2, s8
	v_add3_u32 v5, v5, v9, v10
	s_addc_u32 s9, s10, s9
	v_sub_u32_e32 v0, v0, v7
	v_lshl_add_u64 v[4:5], v[4:5], 3, s[8:9]
	v_add_u32_e32 v0, 64, v0
	v_lshl_add_u64 v[4:5], v[4:5], 0, 4
	s_lshl_b64 s[10:11], s[18:19], 9
	s_mov_b64 s[8:9], 0
	v_mov_b32_e32 v9, v1
	s_branch .LBB21_20
.LBB21_19:                              ;   in Loop: Header=BB21_20 Depth=1
	s_or_b64 exec, exec, s[12:13]
	v_subrev_u32_e32 v0, 64, v0
	v_cmp_gt_u32_e32 vcc, 64, v0
	v_add_u32_e32 v8, 64, v8
	v_lshl_add_u64 v[2:3], v[2:3], 0, s[6:7]
	s_or_b64 s[8:9], vcc, s[8:9]
	v_lshl_add_u64 v[4:5], v[4:5], 0, s[10:11]
	s_andn2_b64 exec, exec, s[8:9]
	s_cbranch_execz .LBB21_22
.LBB21_20:                              ; =>This Inner Loop Header: Depth=1
	v_cmp_gt_i32_e32 vcc, s38, v8
	s_and_saveexec_b64 s[12:13], vcc
	s_cbranch_execz .LBB21_19
; %bb.21:                               ;   in Loop: Header=BB21_20 Depth=1
	global_load_dwordx2 v[10:11], v[2:3], off
	global_load_dwordx2 v[12:13], v[4:5], off offset:-4
	s_waitcnt vmcnt(0)
	v_mul_f32_e32 v14, v13, v11
	v_mul_f32_e32 v11, v12, v11
	v_fma_f32 v12, v12, v10, -v14
	v_fmac_f32_e32 v11, v13, v10
	v_add_f32_e32 v9, v9, v12
	v_add_f32_e32 v1, v1, v11
	s_branch .LBB21_19
.LBB21_22:
	s_or_b64 exec, exec, s[8:9]
.LBB21_23:
	s_or_b64 exec, exec, s[0:1]
	v_mbcnt_lo_u32_b32 v0, -1, 0
	v_mbcnt_hi_u32_b32 v0, -1, v0
	v_mov_b32_e32 v2, 0x80
	v_lshl_or_b32 v2, v0, 2, v2
	ds_bpermute_b32 v3, v2, v9
	ds_bpermute_b32 v2, v2, v1
	v_and_b32_e32 v4, 63, v0
	v_cmp_gt_u32_e32 vcc, 48, v4
	s_waitcnt lgkmcnt(0)
	v_add_f32_e32 v3, v9, v3
	v_add_f32_e32 v1, v1, v2
	v_cndmask_b32_e64 v2, 0, 16, vcc
	v_add_lshl_u32 v2, v2, v0, 2
	ds_bpermute_b32 v5, v2, v3
	ds_bpermute_b32 v2, v2, v1
	v_cmp_gt_u32_e32 vcc, 56, v4
	s_barrier
	s_waitcnt lgkmcnt(0)
	v_add_f32_e32 v3, v3, v5
	v_add_f32_e32 v1, v1, v2
	v_cndmask_b32_e64 v2, 0, 8, vcc
	v_add_lshl_u32 v2, v2, v0, 2
	ds_bpermute_b32 v5, v2, v3
	ds_bpermute_b32 v2, v2, v1
	v_cmp_gt_u32_e32 vcc, 60, v4
	s_waitcnt lgkmcnt(1)
	v_add_f32_e32 v3, v3, v5
	s_waitcnt lgkmcnt(0)
	v_add_f32_e32 v1, v1, v2
	v_cndmask_b32_e64 v2, 0, 4, vcc
	v_add_lshl_u32 v2, v2, v0, 2
	ds_bpermute_b32 v5, v2, v3
	ds_bpermute_b32 v2, v2, v1
	v_cmp_gt_u32_e32 vcc, 62, v4
	s_waitcnt lgkmcnt(1)
	v_add_f32_e32 v3, v3, v5
	s_waitcnt lgkmcnt(0)
	v_add_f32_e32 v1, v1, v2
	v_cndmask_b32_e64 v2, 0, 2, vcc
	v_add_lshl_u32 v2, v2, v0, 2
	ds_bpermute_b32 v5, v2, v3
	ds_bpermute_b32 v2, v2, v1
	v_cmp_ne_u32_e32 vcc, 63, v4
	s_waitcnt lgkmcnt(1)
	v_add_f32_e32 v3, v3, v5
	v_addc_co_u32_e32 v0, vcc, 0, v0, vcc
	s_waitcnt lgkmcnt(0)
	v_add_f32_e32 v1, v1, v2
	v_lshlrev_b32_e32 v0, 2, v0
	ds_bpermute_b32 v2, v0, v3
	ds_bpermute_b32 v0, v0, v1
	s_waitcnt lgkmcnt(1)
	v_add_f32_e32 v2, v3, v2
	s_waitcnt lgkmcnt(0)
	v_add_f32_e32 v0, v1, v0
	v_pk_mul_f32 v[4:5], s[34:35], v[0:1] op_sel:[1,0] op_sel_hi:[0,0]
	v_pk_fma_f32 v[0:1], s[34:35], v[2:3], v[4:5] neg_lo:[0,0,1] neg_hi:[0,0,1]
	v_pk_fma_f32 v[2:3], s[34:35], v[2:3], v[4:5] op_sel_hi:[1,0,1]
	s_nop 0
	v_mov_b32_e32 v1, v3
	v_cmp_eq_u32_e32 vcc, 0, v7
	s_and_b64 exec, exec, vcc
	s_cbranch_execz .LBB21_15
.LBB21_24:
	s_mul_i32 s0, s31, s3
	s_mul_hi_u32 s1, s30, s3
	s_add_i32 s1, s1, s0
	s_mul_i32 s0, s30, s3
	s_lshl_b64 s[0:1], s[0:1], 3
	s_add_u32 s2, s24, s0
	s_addc_u32 s3, s25, s1
	s_lshl_b64 s[0:1], s[26:27], 3
	s_add_u32 s0, s2, s0
	s_addc_u32 s1, s3, s1
	s_or_b32 s2, s4, s5
	v_ashrrev_i32_e32 v2, 31, v6
	s_and_b32 s6, s2, 0x7fffffff
	v_mul_lo_u32 v4, s29, v6
	v_mul_lo_u32 v5, s28, v2
	v_mad_u64_u32 v[2:3], s[2:3], s28, v6, 0
	v_add3_u32 v3, v3, v5, v4
	s_cmp_eq_u32 s6, 0
	v_lshl_add_u64 v[2:3], v[2:3], 3, s[0:1]
	s_cbranch_scc1 .LBB21_26
; %bb.25:
	global_load_dwordx2 v[4:5], v[2:3], off
	s_waitcnt vmcnt(0)
	v_pk_mul_f32 v[6:7], v[4:5], s[4:5] op_sel:[1,1] op_sel_hi:[0,1]
	v_pk_fma_f32 v[8:9], v[4:5], s[4:5], v[6:7] neg_lo:[0,0,1] neg_hi:[0,0,1]
	v_pk_fma_f32 v[4:5], v[4:5], s[4:5], v[6:7] op_sel_hi:[1,0,1]
	s_nop 0
	v_mov_b32_e32 v9, v5
	v_pk_add_f32 v[0:1], v[0:1], v[8:9]
.LBB21_26:
	global_store_dwordx2 v[2:3], v[0:1], off
	s_endpgm
	.section	.rodata,"a",@progbits
	.p2align	6, 0x0
	.amdhsa_kernel _ZL20rocblas_gbmvn_kernelILi64ELi16E24rocblas_internal_val_ptrI19rocblas_complex_numIfEEPKS2_PS2_EvbiiiiT1_T2_lllS8_lllS7_T3_llli
		.amdhsa_group_segment_fixed_size 0
		.amdhsa_private_segment_fixed_size 0
		.amdhsa_kernarg_size 140
		.amdhsa_user_sgpr_count 2
		.amdhsa_user_sgpr_dispatch_ptr 0
		.amdhsa_user_sgpr_queue_ptr 0
		.amdhsa_user_sgpr_kernarg_segment_ptr 1
		.amdhsa_user_sgpr_dispatch_id 0
		.amdhsa_user_sgpr_kernarg_preload_length 0
		.amdhsa_user_sgpr_kernarg_preload_offset 0
		.amdhsa_user_sgpr_private_segment_size 0
		.amdhsa_uses_dynamic_stack 0
		.amdhsa_enable_private_segment 0
		.amdhsa_system_sgpr_workgroup_id_x 1
		.amdhsa_system_sgpr_workgroup_id_y 0
		.amdhsa_system_sgpr_workgroup_id_z 1
		.amdhsa_system_sgpr_workgroup_info 0
		.amdhsa_system_vgpr_workitem_id 1
		.amdhsa_next_free_vgpr 15
		.amdhsa_next_free_sgpr 44
		.amdhsa_accum_offset 16
		.amdhsa_reserve_vcc 1
		.amdhsa_float_round_mode_32 0
		.amdhsa_float_round_mode_16_64 0
		.amdhsa_float_denorm_mode_32 3
		.amdhsa_float_denorm_mode_16_64 3
		.amdhsa_dx10_clamp 1
		.amdhsa_ieee_mode 1
		.amdhsa_fp16_overflow 0
		.amdhsa_tg_split 0
		.amdhsa_exception_fp_ieee_invalid_op 0
		.amdhsa_exception_fp_denorm_src 0
		.amdhsa_exception_fp_ieee_div_zero 0
		.amdhsa_exception_fp_ieee_overflow 0
		.amdhsa_exception_fp_ieee_underflow 0
		.amdhsa_exception_fp_ieee_inexact 0
		.amdhsa_exception_int_div_zero 0
	.end_amdhsa_kernel
	.section	.text._ZL20rocblas_gbmvn_kernelILi64ELi16E24rocblas_internal_val_ptrI19rocblas_complex_numIfEEPKS2_PS2_EvbiiiiT1_T2_lllS8_lllS7_T3_llli,"axG",@progbits,_ZL20rocblas_gbmvn_kernelILi64ELi16E24rocblas_internal_val_ptrI19rocblas_complex_numIfEEPKS2_PS2_EvbiiiiT1_T2_lllS8_lllS7_T3_llli,comdat
.Lfunc_end21:
	.size	_ZL20rocblas_gbmvn_kernelILi64ELi16E24rocblas_internal_val_ptrI19rocblas_complex_numIfEEPKS2_PS2_EvbiiiiT1_T2_lllS8_lllS7_T3_llli, .Lfunc_end21-_ZL20rocblas_gbmvn_kernelILi64ELi16E24rocblas_internal_val_ptrI19rocblas_complex_numIfEEPKS2_PS2_EvbiiiiT1_T2_lllS8_lllS7_T3_llli
                                        ; -- End function
	.set _ZL20rocblas_gbmvn_kernelILi64ELi16E24rocblas_internal_val_ptrI19rocblas_complex_numIfEEPKS2_PS2_EvbiiiiT1_T2_lllS8_lllS7_T3_llli.num_vgpr, 15
	.set _ZL20rocblas_gbmvn_kernelILi64ELi16E24rocblas_internal_val_ptrI19rocblas_complex_numIfEEPKS2_PS2_EvbiiiiT1_T2_lllS8_lllS7_T3_llli.num_agpr, 0
	.set _ZL20rocblas_gbmvn_kernelILi64ELi16E24rocblas_internal_val_ptrI19rocblas_complex_numIfEEPKS2_PS2_EvbiiiiT1_T2_lllS8_lllS7_T3_llli.numbered_sgpr, 44
	.set _ZL20rocblas_gbmvn_kernelILi64ELi16E24rocblas_internal_val_ptrI19rocblas_complex_numIfEEPKS2_PS2_EvbiiiiT1_T2_lllS8_lllS7_T3_llli.num_named_barrier, 0
	.set _ZL20rocblas_gbmvn_kernelILi64ELi16E24rocblas_internal_val_ptrI19rocblas_complex_numIfEEPKS2_PS2_EvbiiiiT1_T2_lllS8_lllS7_T3_llli.private_seg_size, 0
	.set _ZL20rocblas_gbmvn_kernelILi64ELi16E24rocblas_internal_val_ptrI19rocblas_complex_numIfEEPKS2_PS2_EvbiiiiT1_T2_lllS8_lllS7_T3_llli.uses_vcc, 1
	.set _ZL20rocblas_gbmvn_kernelILi64ELi16E24rocblas_internal_val_ptrI19rocblas_complex_numIfEEPKS2_PS2_EvbiiiiT1_T2_lllS8_lllS7_T3_llli.uses_flat_scratch, 0
	.set _ZL20rocblas_gbmvn_kernelILi64ELi16E24rocblas_internal_val_ptrI19rocblas_complex_numIfEEPKS2_PS2_EvbiiiiT1_T2_lllS8_lllS7_T3_llli.has_dyn_sized_stack, 0
	.set _ZL20rocblas_gbmvn_kernelILi64ELi16E24rocblas_internal_val_ptrI19rocblas_complex_numIfEEPKS2_PS2_EvbiiiiT1_T2_lllS8_lllS7_T3_llli.has_recursion, 0
	.set _ZL20rocblas_gbmvn_kernelILi64ELi16E24rocblas_internal_val_ptrI19rocblas_complex_numIfEEPKS2_PS2_EvbiiiiT1_T2_lllS8_lllS7_T3_llli.has_indirect_call, 0
	.section	.AMDGPU.csdata,"",@progbits
; Kernel info:
; codeLenInByte = 1212
; TotalNumSgprs: 50
; NumVgprs: 15
; NumAgprs: 0
; TotalNumVgprs: 15
; ScratchSize: 0
; MemoryBound: 0
; FloatMode: 240
; IeeeMode: 1
; LDSByteSize: 0 bytes/workgroup (compile time only)
; SGPRBlocks: 6
; VGPRBlocks: 1
; NumSGPRsForWavesPerEU: 50
; NumVGPRsForWavesPerEU: 15
; AccumOffset: 16
; Occupancy: 8
; WaveLimiterHint : 0
; COMPUTE_PGM_RSRC2:SCRATCH_EN: 0
; COMPUTE_PGM_RSRC2:USER_SGPR: 2
; COMPUTE_PGM_RSRC2:TRAP_HANDLER: 0
; COMPUTE_PGM_RSRC2:TGID_X_EN: 1
; COMPUTE_PGM_RSRC2:TGID_Y_EN: 0
; COMPUTE_PGM_RSRC2:TGID_Z_EN: 1
; COMPUTE_PGM_RSRC2:TIDIG_COMP_CNT: 1
; COMPUTE_PGM_RSRC3_GFX90A:ACCUM_OFFSET: 3
; COMPUTE_PGM_RSRC3_GFX90A:TG_SPLIT: 0
	.section	.text._ZL20rocblas_gbmvt_kernelILi32ELi32E24rocblas_internal_val_ptrI19rocblas_complex_numIfEEPKS2_PS2_Evb18rocblas_operation_iiiiT1_T2_lllS9_lllS8_T3_llli,"axG",@progbits,_ZL20rocblas_gbmvt_kernelILi32ELi32E24rocblas_internal_val_ptrI19rocblas_complex_numIfEEPKS2_PS2_Evb18rocblas_operation_iiiiT1_T2_lllS9_lllS8_T3_llli,comdat
	.globl	_ZL20rocblas_gbmvt_kernelILi32ELi32E24rocblas_internal_val_ptrI19rocblas_complex_numIfEEPKS2_PS2_Evb18rocblas_operation_iiiiT1_T2_lllS9_lllS8_T3_llli ; -- Begin function _ZL20rocblas_gbmvt_kernelILi32ELi32E24rocblas_internal_val_ptrI19rocblas_complex_numIfEEPKS2_PS2_Evb18rocblas_operation_iiiiT1_T2_lllS9_lllS8_T3_llli
	.p2align	8
	.type	_ZL20rocblas_gbmvt_kernelILi32ELi32E24rocblas_internal_val_ptrI19rocblas_complex_numIfEEPKS2_PS2_Evb18rocblas_operation_iiiiT1_T2_lllS9_lllS8_T3_llli,@function
_ZL20rocblas_gbmvt_kernelILi32ELi32E24rocblas_internal_val_ptrI19rocblas_complex_numIfEEPKS2_PS2_Evb18rocblas_operation_iiiiT1_T2_lllS9_lllS8_T3_llli: ; @_ZL20rocblas_gbmvt_kernelILi32ELi32E24rocblas_internal_val_ptrI19rocblas_complex_numIfEEPKS2_PS2_Evb18rocblas_operation_iiiiT1_T2_lllS9_lllS8_T3_llli
; %bb.0:
	s_load_dwordx4 s[36:39], s[0:1], 0x0
	s_load_dwordx16 s[4:19], s[0:1], 0x18
	s_load_dwordx4 s[28:31], s[0:1], 0x78
	s_load_dwordx8 s[20:27], s[0:1], 0x58
	s_mov_b64 s[42:43], -1
	s_waitcnt lgkmcnt(0)
	s_bitcmp1_b32 s36, 0
	s_cselect_b64 s[34:35], -1, 0
	s_xor_b64 s[40:41], s[34:35], -1
	s_and_b64 vcc, exec, s[40:41]
                                        ; implicit-def: $sgpr34_sgpr35
	s_cbranch_vccnz .LBB22_4
; %bb.1:
	s_andn2_b64 vcc, exec, s[42:43]
	s_cbranch_vccz .LBB22_5
.LBB22_2:
	s_and_b64 vcc, exec, s[40:41]
	s_cbranch_vccz .LBB22_6
.LBB22_3:
	s_load_dwordx2 s[4:5], s[22:23], 0x0
	s_cbranch_execz .LBB22_7
	s_branch .LBB22_8
.LBB22_4:
	s_load_dwordx2 s[34:35], s[4:5], 0x0
	s_cbranch_execnz .LBB22_2
.LBB22_5:
	s_waitcnt lgkmcnt(0)
	s_mov_b64 s[34:35], s[4:5]
	s_and_b64 vcc, exec, s[40:41]
	s_cbranch_vccnz .LBB22_3
.LBB22_6:
                                        ; implicit-def: $sgpr4_sgpr5
.LBB22_7:
	s_waitcnt lgkmcnt(0)
	s_mov_b64 s[4:5], s[22:23]
.LBB22_8:
	s_waitcnt lgkmcnt(0)
	v_cmp_neq_f32_e64 s[22:23], s34, 0
	v_cmp_neq_f32_e64 s[40:41], s35, 0
	s_or_b64 s[40:41], s[22:23], s[40:41]
	s_mov_b64 s[22:23], -1
	s_and_b64 vcc, exec, s[40:41]
	s_cbranch_vccnz .LBB22_10
; %bb.9:
	s_and_b32 s33, s5, 0x7fffffff
	s_cmp_lg_u32 s33, 0
	v_cmp_neq_f32_e64 s[22:23], s4, 1.0
	s_cselect_b64 s[42:43], -1, 0
	s_or_b64 s[22:23], s[22:23], s[42:43]
.LBB22_10:
	s_andn2_b64 vcc, exec, s[22:23]
	s_cbranch_vccnz .LBB22_15
; %bb.11:
	s_load_dwordx2 s[22:23], s[0:1], 0x10
	v_bfe_u32 v1, v0, 10, 10
	v_lshl_add_u32 v8, s2, 5, v1
	v_cmp_gt_i32_e32 vcc, s39, v8
	s_and_saveexec_b64 s[0:1], vcc
	s_cbranch_execz .LBB22_15
; %bb.12:
	s_xor_b64 s[0:1], s[40:41], -1
	s_andn2_b64 vcc, exec, s[0:1]
	s_cbranch_vccnz .LBB22_16
; %bb.13:
	v_and_b32_e32 v9, 0x3ff, v0
	s_cbranch_execz .LBB22_17
; %bb.14:
	v_mov_b32_e32 v0, 0
	v_mov_b32_e32 v1, v0
	v_cmp_eq_u32_e32 vcc, 0, v9
	s_and_b64 exec, exec, vcc
	s_cbranch_execnz .LBB22_30
.LBB22_15:
	s_endpgm
.LBB22_16:
                                        ; implicit-def: $vgpr9
.LBB22_17:
	v_and_b32_e32 v9, 0x3ff, v0
	s_waitcnt lgkmcnt(0)
	s_add_i32 s2, s23, s22
	v_cmp_ge_i32_e32 vcc, s2, v9
	v_mov_b32_e32 v1, 0
	v_mov_b32_e32 v10, 0
	s_and_saveexec_b64 s[40:41], vcc
	s_cbranch_execz .LBB22_29
; %bb.18:
	v_mad_u64_u32 v[0:1], s[0:1], s10, v8, 0
	s_cmpk_lg_i32 s37, 0x71
	s_mul_i32 s0, s13, s3
	s_mul_hi_u32 s1, s12, s3
	s_cselect_b64 s[36:37], -1, 0
	s_add_i32 s1, s1, s0
	s_mul_i32 s0, s12, s3
	v_ashrrev_i32_e32 v4, 31, v8
	s_lshl_b64 s[0:1], s[0:1], 3
	s_lshl_b64 s[8:9], s[8:9], 3
	v_mul_lo_u32 v2, s11, v8
	v_mul_lo_u32 v3, s10, v4
	s_add_u32 s0, s8, s0
	v_add3_u32 v1, v1, v3, v2
	s_addc_u32 s1, s9, s1
	v_lshl_add_u64 v[2:3], v[0:1], 3, s[0:1]
	v_lshlrev_b32_e32 v0, 3, v9
	v_mov_b32_e32 v1, 0
	v_lshl_add_u64 v[2:3], v[2:3], 0, v[0:1]
	v_sub_u32_e32 v0, s23, v9
	v_ashrrev_i32_e32 v5, 31, v0
	v_sub_co_u32_e32 v6, vcc, v8, v0
	v_lshl_add_u64 v[2:3], s[6:7], 0, v[2:3]
	s_nop 0
	v_subb_co_u32_e32 v4, vcc, v4, v5, vcc
	v_mul_lo_u32 v10, s18, v4
	v_mad_u64_u32 v[4:5], s[0:1], s18, v6, 0
	s_mul_i32 s0, s21, s3
	s_mul_hi_u32 s1, s20, s3
	s_add_i32 s1, s1, s0
	s_mul_i32 s0, s20, s3
	s_lshl_b64 s[0:1], s[0:1], 3
	s_lshl_b64 s[6:7], s[16:17], 3
	s_add_u32 s6, s14, s6
	s_addc_u32 s7, s15, s7
	v_mul_lo_u32 v7, s19, v6
	s_add_u32 s0, s6, s0
	v_add3_u32 v5, v5, v10, v7
	s_addc_u32 s1, s7, s1
	v_lshl_add_u64 v[4:5], v[4:5], 3, s[0:1]
	v_lshl_add_u64 v[2:3], v[2:3], 0, 4
	;; [unrolled: 1-line block ×3, first 2 shown]
	s_lshl_b64 s[8:9], s[18:19], 8
	s_mov_b64 s[6:7], 0
	s_mov_b64 s[10:11], 0x100
	v_mov_b32_e32 v11, v9
	v_mov_b32_e32 v10, v1
	s_branch .LBB22_22
.LBB22_19:                              ;   in Loop: Header=BB22_22 Depth=1
	global_load_dwordx2 v[12:13], v[4:5], off offset:-4
	s_waitcnt vmcnt(0)
	v_mul_f32_e32 v14, v7, v13
	v_mul_f32_e32 v13, v13, v6
	v_fma_f32 v6, v12, v6, -v14
	v_fmac_f32_e32 v13, v7, v12
	v_add_f32_e32 v10, v10, v6
	v_add_f32_e32 v1, v1, v13
.LBB22_20:                              ;   in Loop: Header=BB22_22 Depth=1
	s_or_b64 exec, exec, s[0:1]
.LBB22_21:                              ;   in Loop: Header=BB22_22 Depth=1
	s_or_b64 exec, exec, s[12:13]
	v_add_u32_e32 v11, 32, v11
	v_cmp_lt_i32_e32 vcc, s2, v11
	v_lshl_add_u64 v[2:3], v[2:3], 0, s[10:11]
	v_subrev_u32_e32 v0, 32, v0
	s_or_b64 s[6:7], vcc, s[6:7]
	v_lshl_add_u64 v[4:5], v[4:5], 0, s[8:9]
	s_andn2_b64 exec, exec, s[6:7]
	s_cbranch_execz .LBB22_28
.LBB22_22:                              ; =>This Inner Loop Header: Depth=1
	v_add_u32_e32 v6, s38, v0
	v_cmp_lt_i32_e32 vcc, v8, v6
	s_and_saveexec_b64 s[12:13], vcc
	s_cbranch_execz .LBB22_21
; %bb.23:                               ;   in Loop: Header=BB22_22 Depth=1
	v_cmp_lt_i32_e32 vcc, s23, v11
	v_cmp_ge_i32_e64 s[0:1], v8, v0
	s_or_b64 s[14:15], vcc, s[0:1]
	s_and_saveexec_b64 s[0:1], s[14:15]
	s_cbranch_execz .LBB22_20
; %bb.24:                               ;   in Loop: Header=BB22_22 Depth=1
	s_mov_b64 s[14:15], -1
	s_and_b64 vcc, exec, s[36:37]
                                        ; implicit-def: $vgpr7
	s_cbranch_vccz .LBB22_26
; %bb.25:                               ;   in Loop: Header=BB22_22 Depth=1
	global_load_dwordx2 v[6:7], v[2:3], off offset:-4
	s_mov_b64 s[14:15], 0
.LBB22_26:                              ;   in Loop: Header=BB22_22 Depth=1
	s_andn2_b64 vcc, exec, s[14:15]
	s_cbranch_vccnz .LBB22_19
; %bb.27:                               ;   in Loop: Header=BB22_22 Depth=1
	global_load_dwordx2 v[6:7], v[2:3], off offset:-4
	s_waitcnt vmcnt(0)
	v_xor_b32_e32 v7, 0x80000000, v7
	s_branch .LBB22_19
.LBB22_28:
	s_or_b64 exec, exec, s[6:7]
.LBB22_29:
	s_or_b64 exec, exec, s[40:41]
	v_mbcnt_lo_u32_b32 v0, -1, 0
	v_mbcnt_hi_u32_b32 v0, -1, v0
	v_and_b32_e32 v2, 63, v0
	v_cmp_gt_u32_e32 vcc, 48, v2
	s_barrier
	s_nop 0
	v_cndmask_b32_e64 v3, 0, 16, vcc
	v_add_lshl_u32 v3, v3, v0, 2
	ds_bpermute_b32 v4, v3, v10
	ds_bpermute_b32 v3, v3, v1
	v_cmp_gt_u32_e32 vcc, 56, v2
	s_waitcnt lgkmcnt(0)
	v_add_f32_e32 v4, v10, v4
	v_add_f32_e32 v1, v1, v3
	v_cndmask_b32_e64 v3, 0, 8, vcc
	v_add_lshl_u32 v3, v3, v0, 2
	ds_bpermute_b32 v5, v3, v4
	ds_bpermute_b32 v3, v3, v1
	v_cmp_gt_u32_e32 vcc, 60, v2
	s_waitcnt lgkmcnt(1)
	v_add_f32_e32 v4, v4, v5
	s_waitcnt lgkmcnt(0)
	v_add_f32_e32 v1, v1, v3
	v_cndmask_b32_e64 v3, 0, 4, vcc
	v_add_lshl_u32 v3, v3, v0, 2
	ds_bpermute_b32 v5, v3, v4
	ds_bpermute_b32 v3, v3, v1
	v_cmp_gt_u32_e32 vcc, 62, v2
	s_waitcnt lgkmcnt(1)
	v_add_f32_e32 v4, v4, v5
	s_waitcnt lgkmcnt(0)
	v_add_f32_e32 v1, v1, v3
	v_cndmask_b32_e64 v3, 0, 2, vcc
	v_add_lshl_u32 v3, v3, v0, 2
	ds_bpermute_b32 v5, v3, v4
	ds_bpermute_b32 v3, v3, v1
	v_cmp_ne_u32_e32 vcc, 63, v2
	s_waitcnt lgkmcnt(1)
	v_add_f32_e32 v4, v4, v5
	v_addc_co_u32_e32 v0, vcc, 0, v0, vcc
	s_waitcnt lgkmcnt(0)
	v_add_f32_e32 v1, v1, v3
	v_lshlrev_b32_e32 v0, 2, v0
	ds_bpermute_b32 v2, v0, v4
	ds_bpermute_b32 v0, v0, v1
	s_waitcnt lgkmcnt(1)
	v_add_f32_e32 v2, v4, v2
	s_waitcnt lgkmcnt(0)
	v_add_f32_e32 v0, v1, v0
	v_pk_mul_f32 v[4:5], s[34:35], v[0:1] op_sel:[1,0] op_sel_hi:[0,0]
	v_pk_fma_f32 v[0:1], s[34:35], v[2:3], v[4:5] neg_lo:[0,0,1] neg_hi:[0,0,1]
	v_pk_fma_f32 v[2:3], s[34:35], v[2:3], v[4:5] op_sel_hi:[1,0,1]
	s_nop 0
	v_mov_b32_e32 v1, v3
	v_cmp_eq_u32_e32 vcc, 0, v9
	s_and_b64 exec, exec, vcc
	s_cbranch_execz .LBB22_15
.LBB22_30:
	s_mul_i32 s0, s31, s3
	s_mul_hi_u32 s1, s30, s3
	s_add_i32 s1, s1, s0
	s_mul_i32 s0, s30, s3
	s_lshl_b64 s[0:1], s[0:1], 3
	s_add_u32 s2, s24, s0
	s_addc_u32 s3, s25, s1
	s_lshl_b64 s[0:1], s[26:27], 3
	s_add_u32 s0, s2, s0
	s_addc_u32 s1, s3, s1
	s_or_b32 s2, s4, s5
	v_ashrrev_i32_e32 v2, 31, v8
	s_and_b32 s6, s2, 0x7fffffff
	v_mul_lo_u32 v4, s29, v8
	v_mul_lo_u32 v5, s28, v2
	v_mad_u64_u32 v[2:3], s[2:3], s28, v8, 0
	v_add3_u32 v3, v3, v5, v4
	s_cmp_eq_u32 s6, 0
	v_lshl_add_u64 v[2:3], v[2:3], 3, s[0:1]
	s_cbranch_scc1 .LBB22_32
; %bb.31:
	global_load_dwordx2 v[4:5], v[2:3], off
	s_waitcnt vmcnt(0)
	v_pk_mul_f32 v[6:7], v[4:5], s[4:5] op_sel:[1,1] op_sel_hi:[0,1]
	v_pk_fma_f32 v[8:9], v[4:5], s[4:5], v[6:7] neg_lo:[0,0,1] neg_hi:[0,0,1]
	v_pk_fma_f32 v[4:5], v[4:5], s[4:5], v[6:7] op_sel_hi:[1,0,1]
	s_nop 0
	v_mov_b32_e32 v9, v5
	v_pk_add_f32 v[0:1], v[0:1], v[8:9]
.LBB22_32:
	global_store_dwordx2 v[2:3], v[0:1], off
	s_endpgm
	.section	.rodata,"a",@progbits
	.p2align	6, 0x0
	.amdhsa_kernel _ZL20rocblas_gbmvt_kernelILi32ELi32E24rocblas_internal_val_ptrI19rocblas_complex_numIfEEPKS2_PS2_Evb18rocblas_operation_iiiiT1_T2_lllS9_lllS8_T3_llli
		.amdhsa_group_segment_fixed_size 0
		.amdhsa_private_segment_fixed_size 0
		.amdhsa_kernarg_size 140
		.amdhsa_user_sgpr_count 2
		.amdhsa_user_sgpr_dispatch_ptr 0
		.amdhsa_user_sgpr_queue_ptr 0
		.amdhsa_user_sgpr_kernarg_segment_ptr 1
		.amdhsa_user_sgpr_dispatch_id 0
		.amdhsa_user_sgpr_kernarg_preload_length 0
		.amdhsa_user_sgpr_kernarg_preload_offset 0
		.amdhsa_user_sgpr_private_segment_size 0
		.amdhsa_uses_dynamic_stack 0
		.amdhsa_enable_private_segment 0
		.amdhsa_system_sgpr_workgroup_id_x 1
		.amdhsa_system_sgpr_workgroup_id_y 0
		.amdhsa_system_sgpr_workgroup_id_z 1
		.amdhsa_system_sgpr_workgroup_info 0
		.amdhsa_system_vgpr_workitem_id 1
		.amdhsa_next_free_vgpr 15
		.amdhsa_next_free_sgpr 44
		.amdhsa_accum_offset 16
		.amdhsa_reserve_vcc 1
		.amdhsa_float_round_mode_32 0
		.amdhsa_float_round_mode_16_64 0
		.amdhsa_float_denorm_mode_32 3
		.amdhsa_float_denorm_mode_16_64 3
		.amdhsa_dx10_clamp 1
		.amdhsa_ieee_mode 1
		.amdhsa_fp16_overflow 0
		.amdhsa_tg_split 0
		.amdhsa_exception_fp_ieee_invalid_op 0
		.amdhsa_exception_fp_denorm_src 0
		.amdhsa_exception_fp_ieee_div_zero 0
		.amdhsa_exception_fp_ieee_overflow 0
		.amdhsa_exception_fp_ieee_underflow 0
		.amdhsa_exception_fp_ieee_inexact 0
		.amdhsa_exception_int_div_zero 0
	.end_amdhsa_kernel
	.section	.text._ZL20rocblas_gbmvt_kernelILi32ELi32E24rocblas_internal_val_ptrI19rocblas_complex_numIfEEPKS2_PS2_Evb18rocblas_operation_iiiiT1_T2_lllS9_lllS8_T3_llli,"axG",@progbits,_ZL20rocblas_gbmvt_kernelILi32ELi32E24rocblas_internal_val_ptrI19rocblas_complex_numIfEEPKS2_PS2_Evb18rocblas_operation_iiiiT1_T2_lllS9_lllS8_T3_llli,comdat
.Lfunc_end22:
	.size	_ZL20rocblas_gbmvt_kernelILi32ELi32E24rocblas_internal_val_ptrI19rocblas_complex_numIfEEPKS2_PS2_Evb18rocblas_operation_iiiiT1_T2_lllS9_lllS8_T3_llli, .Lfunc_end22-_ZL20rocblas_gbmvt_kernelILi32ELi32E24rocblas_internal_val_ptrI19rocblas_complex_numIfEEPKS2_PS2_Evb18rocblas_operation_iiiiT1_T2_lllS9_lllS8_T3_llli
                                        ; -- End function
	.set _ZL20rocblas_gbmvt_kernelILi32ELi32E24rocblas_internal_val_ptrI19rocblas_complex_numIfEEPKS2_PS2_Evb18rocblas_operation_iiiiT1_T2_lllS9_lllS8_T3_llli.num_vgpr, 15
	.set _ZL20rocblas_gbmvt_kernelILi32ELi32E24rocblas_internal_val_ptrI19rocblas_complex_numIfEEPKS2_PS2_Evb18rocblas_operation_iiiiT1_T2_lllS9_lllS8_T3_llli.num_agpr, 0
	.set _ZL20rocblas_gbmvt_kernelILi32ELi32E24rocblas_internal_val_ptrI19rocblas_complex_numIfEEPKS2_PS2_Evb18rocblas_operation_iiiiT1_T2_lllS9_lllS8_T3_llli.numbered_sgpr, 44
	.set _ZL20rocblas_gbmvt_kernelILi32ELi32E24rocblas_internal_val_ptrI19rocblas_complex_numIfEEPKS2_PS2_Evb18rocblas_operation_iiiiT1_T2_lllS9_lllS8_T3_llli.num_named_barrier, 0
	.set _ZL20rocblas_gbmvt_kernelILi32ELi32E24rocblas_internal_val_ptrI19rocblas_complex_numIfEEPKS2_PS2_Evb18rocblas_operation_iiiiT1_T2_lllS9_lllS8_T3_llli.private_seg_size, 0
	.set _ZL20rocblas_gbmvt_kernelILi32ELi32E24rocblas_internal_val_ptrI19rocblas_complex_numIfEEPKS2_PS2_Evb18rocblas_operation_iiiiT1_T2_lllS9_lllS8_T3_llli.uses_vcc, 1
	.set _ZL20rocblas_gbmvt_kernelILi32ELi32E24rocblas_internal_val_ptrI19rocblas_complex_numIfEEPKS2_PS2_Evb18rocblas_operation_iiiiT1_T2_lllS9_lllS8_T3_llli.uses_flat_scratch, 0
	.set _ZL20rocblas_gbmvt_kernelILi32ELi32E24rocblas_internal_val_ptrI19rocblas_complex_numIfEEPKS2_PS2_Evb18rocblas_operation_iiiiT1_T2_lllS9_lllS8_T3_llli.has_dyn_sized_stack, 0
	.set _ZL20rocblas_gbmvt_kernelILi32ELi32E24rocblas_internal_val_ptrI19rocblas_complex_numIfEEPKS2_PS2_Evb18rocblas_operation_iiiiT1_T2_lllS9_lllS8_T3_llli.has_recursion, 0
	.set _ZL20rocblas_gbmvt_kernelILi32ELi32E24rocblas_internal_val_ptrI19rocblas_complex_numIfEEPKS2_PS2_Evb18rocblas_operation_iiiiT1_T2_lllS9_lllS8_T3_llli.has_indirect_call, 0
	.section	.AMDGPU.csdata,"",@progbits
; Kernel info:
; codeLenInByte = 1252
; TotalNumSgprs: 50
; NumVgprs: 15
; NumAgprs: 0
; TotalNumVgprs: 15
; ScratchSize: 0
; MemoryBound: 0
; FloatMode: 240
; IeeeMode: 1
; LDSByteSize: 0 bytes/workgroup (compile time only)
; SGPRBlocks: 6
; VGPRBlocks: 1
; NumSGPRsForWavesPerEU: 50
; NumVGPRsForWavesPerEU: 15
; AccumOffset: 16
; Occupancy: 8
; WaveLimiterHint : 0
; COMPUTE_PGM_RSRC2:SCRATCH_EN: 0
; COMPUTE_PGM_RSRC2:USER_SGPR: 2
; COMPUTE_PGM_RSRC2:TRAP_HANDLER: 0
; COMPUTE_PGM_RSRC2:TGID_X_EN: 1
; COMPUTE_PGM_RSRC2:TGID_Y_EN: 0
; COMPUTE_PGM_RSRC2:TGID_Z_EN: 1
; COMPUTE_PGM_RSRC2:TIDIG_COMP_CNT: 1
; COMPUTE_PGM_RSRC3_GFX90A:ACCUM_OFFSET: 3
; COMPUTE_PGM_RSRC3_GFX90A:TG_SPLIT: 0
	.section	.text._ZL20rocblas_gbmvt_kernelILi64ELi16E24rocblas_internal_val_ptrI19rocblas_complex_numIfEEPKS2_PS2_Evb18rocblas_operation_iiiiT1_T2_lllS9_lllS8_T3_llli,"axG",@progbits,_ZL20rocblas_gbmvt_kernelILi64ELi16E24rocblas_internal_val_ptrI19rocblas_complex_numIfEEPKS2_PS2_Evb18rocblas_operation_iiiiT1_T2_lllS9_lllS8_T3_llli,comdat
	.globl	_ZL20rocblas_gbmvt_kernelILi64ELi16E24rocblas_internal_val_ptrI19rocblas_complex_numIfEEPKS2_PS2_Evb18rocblas_operation_iiiiT1_T2_lllS9_lllS8_T3_llli ; -- Begin function _ZL20rocblas_gbmvt_kernelILi64ELi16E24rocblas_internal_val_ptrI19rocblas_complex_numIfEEPKS2_PS2_Evb18rocblas_operation_iiiiT1_T2_lllS9_lllS8_T3_llli
	.p2align	8
	.type	_ZL20rocblas_gbmvt_kernelILi64ELi16E24rocblas_internal_val_ptrI19rocblas_complex_numIfEEPKS2_PS2_Evb18rocblas_operation_iiiiT1_T2_lllS9_lllS8_T3_llli,@function
_ZL20rocblas_gbmvt_kernelILi64ELi16E24rocblas_internal_val_ptrI19rocblas_complex_numIfEEPKS2_PS2_Evb18rocblas_operation_iiiiT1_T2_lllS9_lllS8_T3_llli: ; @_ZL20rocblas_gbmvt_kernelILi64ELi16E24rocblas_internal_val_ptrI19rocblas_complex_numIfEEPKS2_PS2_Evb18rocblas_operation_iiiiT1_T2_lllS9_lllS8_T3_llli
; %bb.0:
	s_load_dwordx4 s[36:39], s[0:1], 0x0
	s_load_dwordx16 s[4:19], s[0:1], 0x18
	s_load_dwordx4 s[28:31], s[0:1], 0x78
	s_load_dwordx8 s[20:27], s[0:1], 0x58
	s_mov_b64 s[42:43], -1
	s_waitcnt lgkmcnt(0)
	s_bitcmp1_b32 s36, 0
	s_cselect_b64 s[34:35], -1, 0
	s_xor_b64 s[40:41], s[34:35], -1
	s_and_b64 vcc, exec, s[40:41]
                                        ; implicit-def: $sgpr34_sgpr35
	s_cbranch_vccnz .LBB23_4
; %bb.1:
	s_andn2_b64 vcc, exec, s[42:43]
	s_cbranch_vccz .LBB23_5
.LBB23_2:
	s_and_b64 vcc, exec, s[40:41]
	s_cbranch_vccz .LBB23_6
.LBB23_3:
	s_load_dwordx2 s[4:5], s[22:23], 0x0
	s_cbranch_execz .LBB23_7
	s_branch .LBB23_8
.LBB23_4:
	s_load_dwordx2 s[34:35], s[4:5], 0x0
	s_cbranch_execnz .LBB23_2
.LBB23_5:
	s_waitcnt lgkmcnt(0)
	s_mov_b64 s[34:35], s[4:5]
	s_and_b64 vcc, exec, s[40:41]
	s_cbranch_vccnz .LBB23_3
.LBB23_6:
                                        ; implicit-def: $sgpr4_sgpr5
.LBB23_7:
	s_waitcnt lgkmcnt(0)
	s_mov_b64 s[4:5], s[22:23]
.LBB23_8:
	s_waitcnt lgkmcnt(0)
	v_cmp_neq_f32_e64 s[22:23], s34, 0
	v_cmp_neq_f32_e64 s[40:41], s35, 0
	s_or_b64 s[40:41], s[22:23], s[40:41]
	s_mov_b64 s[22:23], -1
	s_and_b64 vcc, exec, s[40:41]
	s_cbranch_vccnz .LBB23_10
; %bb.9:
	s_and_b32 s33, s5, 0x7fffffff
	s_cmp_lg_u32 s33, 0
	v_cmp_neq_f32_e64 s[22:23], s4, 1.0
	s_cselect_b64 s[42:43], -1, 0
	s_or_b64 s[22:23], s[22:23], s[42:43]
.LBB23_10:
	s_andn2_b64 vcc, exec, s[22:23]
	s_cbranch_vccnz .LBB23_15
; %bb.11:
	s_load_dwordx2 s[22:23], s[0:1], 0x10
	v_bfe_u32 v1, v0, 10, 10
	v_lshl_add_u32 v8, s2, 4, v1
	v_cmp_gt_i32_e32 vcc, s39, v8
	s_and_saveexec_b64 s[0:1], vcc
	s_cbranch_execz .LBB23_15
; %bb.12:
	s_xor_b64 s[0:1], s[40:41], -1
	s_andn2_b64 vcc, exec, s[0:1]
	s_cbranch_vccnz .LBB23_16
; %bb.13:
	v_and_b32_e32 v9, 0x3ff, v0
	s_cbranch_execz .LBB23_17
; %bb.14:
	v_mov_b32_e32 v0, 0
	v_mov_b32_e32 v1, v0
	v_cmp_eq_u32_e32 vcc, 0, v9
	s_and_b64 exec, exec, vcc
	s_cbranch_execnz .LBB23_30
.LBB23_15:
	s_endpgm
.LBB23_16:
                                        ; implicit-def: $vgpr9
.LBB23_17:
	v_and_b32_e32 v9, 0x3ff, v0
	s_waitcnt lgkmcnt(0)
	s_add_i32 s2, s23, s22
	v_cmp_ge_i32_e32 vcc, s2, v9
	v_mov_b32_e32 v1, 0
	v_mov_b32_e32 v10, 0
	s_and_saveexec_b64 s[40:41], vcc
	s_cbranch_execz .LBB23_29
; %bb.18:
	v_mad_u64_u32 v[0:1], s[0:1], s10, v8, 0
	s_cmpk_lg_i32 s37, 0x71
	s_mul_i32 s0, s13, s3
	s_mul_hi_u32 s1, s12, s3
	s_cselect_b64 s[36:37], -1, 0
	s_add_i32 s1, s1, s0
	s_mul_i32 s0, s12, s3
	v_ashrrev_i32_e32 v4, 31, v8
	s_lshl_b64 s[0:1], s[0:1], 3
	s_lshl_b64 s[8:9], s[8:9], 3
	v_mul_lo_u32 v2, s11, v8
	v_mul_lo_u32 v3, s10, v4
	s_add_u32 s0, s8, s0
	v_add3_u32 v1, v1, v3, v2
	s_addc_u32 s1, s9, s1
	v_lshl_add_u64 v[2:3], v[0:1], 3, s[0:1]
	v_lshlrev_b32_e32 v0, 3, v9
	v_mov_b32_e32 v1, 0
	v_lshl_add_u64 v[2:3], v[2:3], 0, v[0:1]
	v_sub_u32_e32 v0, s23, v9
	v_ashrrev_i32_e32 v5, 31, v0
	v_sub_co_u32_e32 v6, vcc, v8, v0
	v_lshl_add_u64 v[2:3], s[6:7], 0, v[2:3]
	s_nop 0
	v_subb_co_u32_e32 v4, vcc, v4, v5, vcc
	v_mul_lo_u32 v10, s18, v4
	v_mad_u64_u32 v[4:5], s[0:1], s18, v6, 0
	s_mul_i32 s0, s21, s3
	s_mul_hi_u32 s1, s20, s3
	s_add_i32 s1, s1, s0
	s_mul_i32 s0, s20, s3
	s_lshl_b64 s[0:1], s[0:1], 3
	s_lshl_b64 s[6:7], s[16:17], 3
	s_add_u32 s6, s14, s6
	s_addc_u32 s7, s15, s7
	v_mul_lo_u32 v7, s19, v6
	s_add_u32 s0, s6, s0
	v_add3_u32 v5, v5, v10, v7
	s_addc_u32 s1, s7, s1
	v_lshl_add_u64 v[4:5], v[4:5], 3, s[0:1]
	v_lshl_add_u64 v[2:3], v[2:3], 0, 4
	;; [unrolled: 1-line block ×3, first 2 shown]
	s_lshl_b64 s[8:9], s[18:19], 9
	s_mov_b64 s[6:7], 0
	s_mov_b64 s[10:11], 0x200
	v_mov_b32_e32 v11, v9
	v_mov_b32_e32 v10, v1
	s_branch .LBB23_22
.LBB23_19:                              ;   in Loop: Header=BB23_22 Depth=1
	global_load_dwordx2 v[12:13], v[4:5], off offset:-4
	s_waitcnt vmcnt(0)
	v_mul_f32_e32 v14, v7, v13
	v_mul_f32_e32 v13, v13, v6
	v_fma_f32 v6, v12, v6, -v14
	v_fmac_f32_e32 v13, v7, v12
	v_add_f32_e32 v10, v10, v6
	v_add_f32_e32 v1, v1, v13
.LBB23_20:                              ;   in Loop: Header=BB23_22 Depth=1
	s_or_b64 exec, exec, s[0:1]
.LBB23_21:                              ;   in Loop: Header=BB23_22 Depth=1
	s_or_b64 exec, exec, s[12:13]
	v_add_u32_e32 v11, 64, v11
	v_cmp_lt_i32_e32 vcc, s2, v11
	v_lshl_add_u64 v[2:3], v[2:3], 0, s[10:11]
	v_subrev_u32_e32 v0, 64, v0
	s_or_b64 s[6:7], vcc, s[6:7]
	v_lshl_add_u64 v[4:5], v[4:5], 0, s[8:9]
	s_andn2_b64 exec, exec, s[6:7]
	s_cbranch_execz .LBB23_28
.LBB23_22:                              ; =>This Inner Loop Header: Depth=1
	v_add_u32_e32 v6, s38, v0
	v_cmp_lt_i32_e32 vcc, v8, v6
	s_and_saveexec_b64 s[12:13], vcc
	s_cbranch_execz .LBB23_21
; %bb.23:                               ;   in Loop: Header=BB23_22 Depth=1
	v_cmp_lt_i32_e32 vcc, s23, v11
	v_cmp_ge_i32_e64 s[0:1], v8, v0
	s_or_b64 s[14:15], vcc, s[0:1]
	s_and_saveexec_b64 s[0:1], s[14:15]
	s_cbranch_execz .LBB23_20
; %bb.24:                               ;   in Loop: Header=BB23_22 Depth=1
	s_mov_b64 s[14:15], -1
	s_and_b64 vcc, exec, s[36:37]
                                        ; implicit-def: $vgpr7
	s_cbranch_vccz .LBB23_26
; %bb.25:                               ;   in Loop: Header=BB23_22 Depth=1
	global_load_dwordx2 v[6:7], v[2:3], off offset:-4
	s_mov_b64 s[14:15], 0
.LBB23_26:                              ;   in Loop: Header=BB23_22 Depth=1
	s_andn2_b64 vcc, exec, s[14:15]
	s_cbranch_vccnz .LBB23_19
; %bb.27:                               ;   in Loop: Header=BB23_22 Depth=1
	global_load_dwordx2 v[6:7], v[2:3], off offset:-4
	s_waitcnt vmcnt(0)
	v_xor_b32_e32 v7, 0x80000000, v7
	s_branch .LBB23_19
.LBB23_28:
	s_or_b64 exec, exec, s[6:7]
.LBB23_29:
	s_or_b64 exec, exec, s[40:41]
	v_mbcnt_lo_u32_b32 v0, -1, 0
	v_mbcnt_hi_u32_b32 v0, -1, v0
	v_mov_b32_e32 v2, 0x80
	v_lshl_or_b32 v2, v0, 2, v2
	ds_bpermute_b32 v3, v2, v10
	ds_bpermute_b32 v2, v2, v1
	v_and_b32_e32 v4, 63, v0
	v_cmp_gt_u32_e32 vcc, 48, v4
	s_waitcnt lgkmcnt(0)
	v_add_f32_e32 v3, v10, v3
	v_add_f32_e32 v1, v1, v2
	v_cndmask_b32_e64 v2, 0, 16, vcc
	v_add_lshl_u32 v2, v2, v0, 2
	ds_bpermute_b32 v5, v2, v3
	ds_bpermute_b32 v2, v2, v1
	v_cmp_gt_u32_e32 vcc, 56, v4
	s_barrier
	s_waitcnt lgkmcnt(0)
	v_add_f32_e32 v3, v3, v5
	v_add_f32_e32 v1, v1, v2
	v_cndmask_b32_e64 v2, 0, 8, vcc
	v_add_lshl_u32 v2, v2, v0, 2
	ds_bpermute_b32 v5, v2, v3
	ds_bpermute_b32 v2, v2, v1
	v_cmp_gt_u32_e32 vcc, 60, v4
	s_waitcnt lgkmcnt(1)
	v_add_f32_e32 v3, v3, v5
	s_waitcnt lgkmcnt(0)
	v_add_f32_e32 v1, v1, v2
	v_cndmask_b32_e64 v2, 0, 4, vcc
	v_add_lshl_u32 v2, v2, v0, 2
	ds_bpermute_b32 v5, v2, v3
	ds_bpermute_b32 v2, v2, v1
	v_cmp_gt_u32_e32 vcc, 62, v4
	s_waitcnt lgkmcnt(1)
	v_add_f32_e32 v3, v3, v5
	s_waitcnt lgkmcnt(0)
	v_add_f32_e32 v1, v1, v2
	v_cndmask_b32_e64 v2, 0, 2, vcc
	v_add_lshl_u32 v2, v2, v0, 2
	ds_bpermute_b32 v5, v2, v3
	ds_bpermute_b32 v2, v2, v1
	v_cmp_ne_u32_e32 vcc, 63, v4
	s_waitcnt lgkmcnt(1)
	v_add_f32_e32 v3, v3, v5
	v_addc_co_u32_e32 v0, vcc, 0, v0, vcc
	s_waitcnt lgkmcnt(0)
	v_add_f32_e32 v1, v1, v2
	v_lshlrev_b32_e32 v0, 2, v0
	ds_bpermute_b32 v2, v0, v3
	ds_bpermute_b32 v0, v0, v1
	s_waitcnt lgkmcnt(1)
	v_add_f32_e32 v2, v3, v2
	s_waitcnt lgkmcnt(0)
	v_add_f32_e32 v0, v1, v0
	v_pk_mul_f32 v[4:5], s[34:35], v[0:1] op_sel:[1,0] op_sel_hi:[0,0]
	v_pk_fma_f32 v[0:1], s[34:35], v[2:3], v[4:5] neg_lo:[0,0,1] neg_hi:[0,0,1]
	v_pk_fma_f32 v[2:3], s[34:35], v[2:3], v[4:5] op_sel_hi:[1,0,1]
	s_nop 0
	v_mov_b32_e32 v1, v3
	v_cmp_eq_u32_e32 vcc, 0, v9
	s_and_b64 exec, exec, vcc
	s_cbranch_execz .LBB23_15
.LBB23_30:
	s_mul_i32 s0, s31, s3
	s_mul_hi_u32 s1, s30, s3
	s_add_i32 s1, s1, s0
	s_mul_i32 s0, s30, s3
	s_lshl_b64 s[0:1], s[0:1], 3
	s_add_u32 s2, s24, s0
	s_addc_u32 s3, s25, s1
	s_lshl_b64 s[0:1], s[26:27], 3
	s_add_u32 s0, s2, s0
	s_addc_u32 s1, s3, s1
	s_or_b32 s2, s4, s5
	v_ashrrev_i32_e32 v2, 31, v8
	s_and_b32 s6, s2, 0x7fffffff
	v_mul_lo_u32 v4, s29, v8
	v_mul_lo_u32 v5, s28, v2
	v_mad_u64_u32 v[2:3], s[2:3], s28, v8, 0
	v_add3_u32 v3, v3, v5, v4
	s_cmp_eq_u32 s6, 0
	v_lshl_add_u64 v[2:3], v[2:3], 3, s[0:1]
	s_cbranch_scc1 .LBB23_32
; %bb.31:
	global_load_dwordx2 v[4:5], v[2:3], off
	s_waitcnt vmcnt(0)
	v_pk_mul_f32 v[6:7], v[4:5], s[4:5] op_sel:[1,1] op_sel_hi:[0,1]
	v_pk_fma_f32 v[8:9], v[4:5], s[4:5], v[6:7] neg_lo:[0,0,1] neg_hi:[0,0,1]
	v_pk_fma_f32 v[4:5], v[4:5], s[4:5], v[6:7] op_sel_hi:[1,0,1]
	s_nop 0
	v_mov_b32_e32 v9, v5
	v_pk_add_f32 v[0:1], v[0:1], v[8:9]
.LBB23_32:
	global_store_dwordx2 v[2:3], v[0:1], off
	s_endpgm
	.section	.rodata,"a",@progbits
	.p2align	6, 0x0
	.amdhsa_kernel _ZL20rocblas_gbmvt_kernelILi64ELi16E24rocblas_internal_val_ptrI19rocblas_complex_numIfEEPKS2_PS2_Evb18rocblas_operation_iiiiT1_T2_lllS9_lllS8_T3_llli
		.amdhsa_group_segment_fixed_size 0
		.amdhsa_private_segment_fixed_size 0
		.amdhsa_kernarg_size 140
		.amdhsa_user_sgpr_count 2
		.amdhsa_user_sgpr_dispatch_ptr 0
		.amdhsa_user_sgpr_queue_ptr 0
		.amdhsa_user_sgpr_kernarg_segment_ptr 1
		.amdhsa_user_sgpr_dispatch_id 0
		.amdhsa_user_sgpr_kernarg_preload_length 0
		.amdhsa_user_sgpr_kernarg_preload_offset 0
		.amdhsa_user_sgpr_private_segment_size 0
		.amdhsa_uses_dynamic_stack 0
		.amdhsa_enable_private_segment 0
		.amdhsa_system_sgpr_workgroup_id_x 1
		.amdhsa_system_sgpr_workgroup_id_y 0
		.amdhsa_system_sgpr_workgroup_id_z 1
		.amdhsa_system_sgpr_workgroup_info 0
		.amdhsa_system_vgpr_workitem_id 1
		.amdhsa_next_free_vgpr 15
		.amdhsa_next_free_sgpr 44
		.amdhsa_accum_offset 16
		.amdhsa_reserve_vcc 1
		.amdhsa_float_round_mode_32 0
		.amdhsa_float_round_mode_16_64 0
		.amdhsa_float_denorm_mode_32 3
		.amdhsa_float_denorm_mode_16_64 3
		.amdhsa_dx10_clamp 1
		.amdhsa_ieee_mode 1
		.amdhsa_fp16_overflow 0
		.amdhsa_tg_split 0
		.amdhsa_exception_fp_ieee_invalid_op 0
		.amdhsa_exception_fp_denorm_src 0
		.amdhsa_exception_fp_ieee_div_zero 0
		.amdhsa_exception_fp_ieee_overflow 0
		.amdhsa_exception_fp_ieee_underflow 0
		.amdhsa_exception_fp_ieee_inexact 0
		.amdhsa_exception_int_div_zero 0
	.end_amdhsa_kernel
	.section	.text._ZL20rocblas_gbmvt_kernelILi64ELi16E24rocblas_internal_val_ptrI19rocblas_complex_numIfEEPKS2_PS2_Evb18rocblas_operation_iiiiT1_T2_lllS9_lllS8_T3_llli,"axG",@progbits,_ZL20rocblas_gbmvt_kernelILi64ELi16E24rocblas_internal_val_ptrI19rocblas_complex_numIfEEPKS2_PS2_Evb18rocblas_operation_iiiiT1_T2_lllS9_lllS8_T3_llli,comdat
.Lfunc_end23:
	.size	_ZL20rocblas_gbmvt_kernelILi64ELi16E24rocblas_internal_val_ptrI19rocblas_complex_numIfEEPKS2_PS2_Evb18rocblas_operation_iiiiT1_T2_lllS9_lllS8_T3_llli, .Lfunc_end23-_ZL20rocblas_gbmvt_kernelILi64ELi16E24rocblas_internal_val_ptrI19rocblas_complex_numIfEEPKS2_PS2_Evb18rocblas_operation_iiiiT1_T2_lllS9_lllS8_T3_llli
                                        ; -- End function
	.set _ZL20rocblas_gbmvt_kernelILi64ELi16E24rocblas_internal_val_ptrI19rocblas_complex_numIfEEPKS2_PS2_Evb18rocblas_operation_iiiiT1_T2_lllS9_lllS8_T3_llli.num_vgpr, 15
	.set _ZL20rocblas_gbmvt_kernelILi64ELi16E24rocblas_internal_val_ptrI19rocblas_complex_numIfEEPKS2_PS2_Evb18rocblas_operation_iiiiT1_T2_lllS9_lllS8_T3_llli.num_agpr, 0
	.set _ZL20rocblas_gbmvt_kernelILi64ELi16E24rocblas_internal_val_ptrI19rocblas_complex_numIfEEPKS2_PS2_Evb18rocblas_operation_iiiiT1_T2_lllS9_lllS8_T3_llli.numbered_sgpr, 44
	.set _ZL20rocblas_gbmvt_kernelILi64ELi16E24rocblas_internal_val_ptrI19rocblas_complex_numIfEEPKS2_PS2_Evb18rocblas_operation_iiiiT1_T2_lllS9_lllS8_T3_llli.num_named_barrier, 0
	.set _ZL20rocblas_gbmvt_kernelILi64ELi16E24rocblas_internal_val_ptrI19rocblas_complex_numIfEEPKS2_PS2_Evb18rocblas_operation_iiiiT1_T2_lllS9_lllS8_T3_llli.private_seg_size, 0
	.set _ZL20rocblas_gbmvt_kernelILi64ELi16E24rocblas_internal_val_ptrI19rocblas_complex_numIfEEPKS2_PS2_Evb18rocblas_operation_iiiiT1_T2_lllS9_lllS8_T3_llli.uses_vcc, 1
	.set _ZL20rocblas_gbmvt_kernelILi64ELi16E24rocblas_internal_val_ptrI19rocblas_complex_numIfEEPKS2_PS2_Evb18rocblas_operation_iiiiT1_T2_lllS9_lllS8_T3_llli.uses_flat_scratch, 0
	.set _ZL20rocblas_gbmvt_kernelILi64ELi16E24rocblas_internal_val_ptrI19rocblas_complex_numIfEEPKS2_PS2_Evb18rocblas_operation_iiiiT1_T2_lllS9_lllS8_T3_llli.has_dyn_sized_stack, 0
	.set _ZL20rocblas_gbmvt_kernelILi64ELi16E24rocblas_internal_val_ptrI19rocblas_complex_numIfEEPKS2_PS2_Evb18rocblas_operation_iiiiT1_T2_lllS9_lllS8_T3_llli.has_recursion, 0
	.set _ZL20rocblas_gbmvt_kernelILi64ELi16E24rocblas_internal_val_ptrI19rocblas_complex_numIfEEPKS2_PS2_Evb18rocblas_operation_iiiiT1_T2_lllS9_lllS8_T3_llli.has_indirect_call, 0
	.section	.AMDGPU.csdata,"",@progbits
; Kernel info:
; codeLenInByte = 1292
; TotalNumSgprs: 50
; NumVgprs: 15
; NumAgprs: 0
; TotalNumVgprs: 15
; ScratchSize: 0
; MemoryBound: 0
; FloatMode: 240
; IeeeMode: 1
; LDSByteSize: 0 bytes/workgroup (compile time only)
; SGPRBlocks: 6
; VGPRBlocks: 1
; NumSGPRsForWavesPerEU: 50
; NumVGPRsForWavesPerEU: 15
; AccumOffset: 16
; Occupancy: 8
; WaveLimiterHint : 0
; COMPUTE_PGM_RSRC2:SCRATCH_EN: 0
; COMPUTE_PGM_RSRC2:USER_SGPR: 2
; COMPUTE_PGM_RSRC2:TRAP_HANDLER: 0
; COMPUTE_PGM_RSRC2:TGID_X_EN: 1
; COMPUTE_PGM_RSRC2:TGID_Y_EN: 0
; COMPUTE_PGM_RSRC2:TGID_Z_EN: 1
; COMPUTE_PGM_RSRC2:TIDIG_COMP_CNT: 1
; COMPUTE_PGM_RSRC3_GFX90A:ACCUM_OFFSET: 3
; COMPUTE_PGM_RSRC3_GFX90A:TG_SPLIT: 0
	.section	.text._ZL20rocblas_gbmvn_kernelILi32ELi32E24rocblas_internal_val_ptrI19rocblas_complex_numIdEEPKS2_PS2_EvbiiiiT1_T2_lllS8_lllS7_T3_llli,"axG",@progbits,_ZL20rocblas_gbmvn_kernelILi32ELi32E24rocblas_internal_val_ptrI19rocblas_complex_numIdEEPKS2_PS2_EvbiiiiT1_T2_lllS8_lllS7_T3_llli,comdat
	.globl	_ZL20rocblas_gbmvn_kernelILi32ELi32E24rocblas_internal_val_ptrI19rocblas_complex_numIdEEPKS2_PS2_EvbiiiiT1_T2_lllS8_lllS7_T3_llli ; -- Begin function _ZL20rocblas_gbmvn_kernelILi32ELi32E24rocblas_internal_val_ptrI19rocblas_complex_numIdEEPKS2_PS2_EvbiiiiT1_T2_lllS8_lllS7_T3_llli
	.p2align	8
	.type	_ZL20rocblas_gbmvn_kernelILi32ELi32E24rocblas_internal_val_ptrI19rocblas_complex_numIdEEPKS2_PS2_EvbiiiiT1_T2_lllS8_lllS7_T3_llli,@function
_ZL20rocblas_gbmvn_kernelILi32ELi32E24rocblas_internal_val_ptrI19rocblas_complex_numIdEEPKS2_PS2_EvbiiiiT1_T2_lllS8_lllS7_T3_llli: ; @_ZL20rocblas_gbmvn_kernelILi32ELi32E24rocblas_internal_val_ptrI19rocblas_complex_numIdEEPKS2_PS2_EvbiiiiT1_T2_lllS8_lllS7_T3_llli
; %bb.0:
	s_load_dwordx4 s[40:43], s[0:1], 0x0
	s_load_dwordx2 s[6:7], s[0:1], 0x18
	s_load_dwordx4 s[24:27], s[0:1], 0x88
	s_load_dwordx8 s[16:23], s[0:1], 0x68
	s_mov_b64 s[8:9], -1
                                        ; implicit-def: $sgpr38_sgpr39
	s_waitcnt lgkmcnt(0)
	s_bitcmp1_b32 s40, 0
	s_cselect_b64 s[4:5], -1, 0
	s_xor_b64 s[4:5], s[4:5], -1
	s_and_b64 vcc, exec, s[4:5]
	s_cbranch_vccnz .LBB24_4
; %bb.1:
	s_andn2_b64 vcc, exec, s[8:9]
	s_cbranch_vccz .LBB24_5
.LBB24_2:
	s_and_b64 vcc, exec, s[4:5]
	s_cbranch_vccz .LBB24_6
.LBB24_3:
	s_load_dwordx4 s[28:31], s[16:17], 0x0
	s_cbranch_execz .LBB24_7
	s_branch .LBB24_8
.LBB24_4:
	s_load_dwordx4 s[36:39], s[6:7], 0x0
	s_cbranch_execnz .LBB24_2
.LBB24_5:
	s_waitcnt lgkmcnt(0)
	s_load_dwordx2 s[38:39], s[0:1], 0x20
	s_mov_b64 s[36:37], s[6:7]
	s_and_b64 vcc, exec, s[4:5]
	s_cbranch_vccnz .LBB24_3
.LBB24_6:
                                        ; implicit-def: $sgpr30_sgpr31
.LBB24_7:
	s_waitcnt lgkmcnt(0)
	s_mov_b64 s[28:29], s[16:17]
	s_mov_b64 s[30:31], s[18:19]
.LBB24_8:
	s_waitcnt lgkmcnt(0)
	v_cmp_neq_f64_e64 s[4:5], s[36:37], 0
	v_cmp_neq_f64_e64 s[6:7], s[38:39], 0
	s_or_b64 s[4:5], s[4:5], s[6:7]
	s_mov_b64 s[6:7], -1
	s_and_b64 vcc, exec, s[4:5]
	s_cbranch_vccnz .LBB24_10
; %bb.9:
	v_cmp_neq_f64_e64 s[6:7], s[28:29], 1.0
	v_cmp_neq_f64_e64 s[8:9], s[30:31], 0
	s_or_b64 s[6:7], s[6:7], s[8:9]
.LBB24_10:
	s_andn2_b64 vcc, exec, s[6:7]
	s_cbranch_vccnz .LBB24_26
; %bb.11:
	s_load_dword s33, s[0:1], 0x10
	v_bfe_u32 v1, v0, 10, 10
	v_lshl_add_u32 v8, s2, 5, v1
	v_cmp_gt_i32_e32 vcc, s41, v8
	s_and_saveexec_b64 s[6:7], vcc
	s_cbranch_execz .LBB24_26
; %bb.12:
	s_xor_b64 s[4:5], s[4:5], -1
	s_andn2_b64 vcc, exec, s[4:5]
	s_cbranch_vccnz .LBB24_14
; %bb.13:
	v_and_b32_e32 v9, 0x3ff, v0
	v_mov_b64_e32 v[4:5], 0
	v_mov_b64_e32 v[2:3], 0
	s_cbranch_execz .LBB24_15
	s_branch .LBB24_22
.LBB24_14:
                                        ; implicit-def: $vgpr9
	v_mov_b64_e32 v[4:5], 0
	v_mov_b64_e32 v[2:3], 0
.LBB24_15:
	v_and_b32_e32 v9, 0x3ff, v0
	v_min_i32_e32 v6, s43, v8
	s_waitcnt lgkmcnt(0)
	v_sub_u32_e32 v0, s33, v9
	v_add_u32_e32 v2, v0, v6
	v_cmp_lt_i32_e32 vcc, -1, v2
	v_mov_b64_e32 v[0:1], 0
	v_mov_b64_e32 v[4:5], 0
	s_and_saveexec_b64 s[34:35], vcc
	s_cbranch_execz .LBB24_21
; %bb.16:
	s_load_dwordx16 s[4:19], s[0:1], 0x28
	v_subrev_u32_e32 v0, s43, v8
	v_max_i32_e32 v0, 0, v0
	v_add_u32_e32 v10, v0, v9
	v_ashrrev_i32_e32 v4, 31, v10
	s_waitcnt lgkmcnt(0)
	v_mad_u64_u32 v[0:1], s[0:1], s8, v10, 0
	s_mul_i32 s0, s11, s3
	s_mul_hi_u32 s1, s10, s3
	s_add_i32 s1, s1, s0
	s_mul_i32 s0, s10, s3
	s_lshl_b64 s[0:1], s[0:1], 4
	s_lshl_b64 s[6:7], s[6:7], 4
	v_mul_lo_u32 v3, s8, v4
	v_mul_lo_u32 v5, s9, v10
	s_add_u32 s0, s6, s0
	v_add3_u32 v1, v1, v3, v5
	s_addc_u32 s1, s7, s1
	v_lshl_add_u64 v[0:1], v[0:1], 4, s[0:1]
	v_mov_b32_e32 v3, 0
	v_lshl_add_u64 v[0:1], v[2:3], 4, v[0:1]
	v_lshl_add_u64 v[0:1], s[4:5], 0, v[0:1]
	v_lshl_add_u64 v[2:3], v[0:1], 0, 8
	v_add_u32_e32 v0, s33, v6
	v_sub_u32_e32 v0, v0, v9
	s_lshl_b64 s[0:1], s[8:9], 9
	v_add_u32_e32 v11, 32, v0
	v_mad_u64_u32 v[0:1], s[4:5], s16, v10, 0
	s_add_u32 s0, s0, 0xfffffe00
	s_mul_i32 s2, s19, s3
	s_mul_hi_u32 s4, s18, s3
	s_addc_u32 s1, s1, -1
	s_add_i32 s5, s4, s2
	s_mul_i32 s4, s18, s3
	s_lshl_b64 s[4:5], s[4:5], 4
	s_lshl_b64 s[6:7], s[14:15], 4
	s_add_u32 s2, s12, s6
	s_addc_u32 s6, s13, s7
	v_mul_lo_u32 v4, s16, v4
	v_mul_lo_u32 v5, s17, v10
	s_add_u32 s4, s2, s4
	v_add3_u32 v1, v1, v4, v5
	s_addc_u32 s5, s6, s5
	v_lshl_add_u64 v[0:1], v[0:1], 4, s[4:5]
	v_lshl_add_u64 v[6:7], v[0:1], 0, 8
	s_lshl_b64 s[4:5], s[16:17], 9
	v_mov_b64_e32 v[0:1], 0
	s_mov_b64 s[6:7], 0
	v_mov_b64_e32 v[4:5], 0
	s_branch .LBB24_18
.LBB24_17:                              ;   in Loop: Header=BB24_18 Depth=1
	s_or_b64 exec, exec, s[8:9]
	v_subrev_u32_e32 v11, 32, v11
	v_cmp_gt_u32_e32 vcc, 32, v11
	v_add_u32_e32 v10, 32, v10
	v_lshl_add_u64 v[2:3], v[2:3], 0, s[0:1]
	s_or_b64 s[6:7], vcc, s[6:7]
	v_lshl_add_u64 v[6:7], v[6:7], 0, s[4:5]
	s_andn2_b64 exec, exec, s[6:7]
	s_cbranch_execz .LBB24_20
.LBB24_18:                              ; =>This Inner Loop Header: Depth=1
	v_cmp_gt_i32_e32 vcc, s42, v10
	s_and_saveexec_b64 s[8:9], vcc
	s_cbranch_execz .LBB24_17
; %bb.19:                               ;   in Loop: Header=BB24_18 Depth=1
	global_load_dwordx4 v[12:15], v[6:7], off offset:-8
	global_load_dwordx4 v[16:19], v[2:3], off offset:-8
	s_waitcnt vmcnt(0)
	v_mul_f64 v[20:21], v[14:15], v[18:19]
	v_mul_f64 v[18:19], v[12:13], v[18:19]
	v_fma_f64 v[12:13], v[12:13], v[16:17], -v[20:21]
	v_fmac_f64_e32 v[18:19], v[14:15], v[16:17]
	v_add_f64 v[4:5], v[4:5], v[12:13]
	v_add_f64 v[0:1], v[0:1], v[18:19]
	s_branch .LBB24_17
.LBB24_20:
	s_or_b64 exec, exec, s[6:7]
.LBB24_21:
	s_or_b64 exec, exec, s[34:35]
	v_mbcnt_lo_u32_b32 v2, -1, 0
	v_mbcnt_hi_u32_b32 v10, -1, v2
	v_and_b32_e32 v11, 63, v10
	v_cmp_gt_u32_e32 vcc, 48, v11
	s_barrier
	s_nop 0
	v_cndmask_b32_e64 v2, 0, 16, vcc
	v_add_lshl_u32 v7, v2, v10, 2
	ds_bpermute_b32 v2, v7, v4
	ds_bpermute_b32 v3, v7, v5
	;; [unrolled: 1-line block ×4, first 2 shown]
	v_cmp_gt_u32_e32 vcc, 56, v11
	s_waitcnt lgkmcnt(0)
	v_add_f64 v[2:3], v[4:5], v[2:3]
	v_cndmask_b32_e64 v4, 0, 8, vcc
	v_add_f64 v[0:1], v[0:1], v[6:7]
	v_add_lshl_u32 v7, v4, v10, 2
	ds_bpermute_b32 v4, v7, v2
	ds_bpermute_b32 v5, v7, v3
	;; [unrolled: 1-line block ×4, first 2 shown]
	v_cmp_gt_u32_e32 vcc, 60, v11
	s_waitcnt lgkmcnt(2)
	v_add_f64 v[2:3], v[2:3], v[4:5]
	v_cndmask_b32_e64 v4, 0, 4, vcc
	s_waitcnt lgkmcnt(0)
	v_add_f64 v[0:1], v[0:1], v[6:7]
	v_add_lshl_u32 v7, v4, v10, 2
	ds_bpermute_b32 v4, v7, v2
	ds_bpermute_b32 v5, v7, v3
	;; [unrolled: 1-line block ×4, first 2 shown]
	v_cmp_gt_u32_e32 vcc, 62, v11
	s_waitcnt lgkmcnt(2)
	v_add_f64 v[2:3], v[2:3], v[4:5]
	v_cndmask_b32_e64 v4, 0, 2, vcc
	s_waitcnt lgkmcnt(0)
	v_add_f64 v[0:1], v[0:1], v[6:7]
	v_add_lshl_u32 v7, v4, v10, 2
	ds_bpermute_b32 v4, v7, v2
	ds_bpermute_b32 v5, v7, v3
	;; [unrolled: 1-line block ×4, first 2 shown]
	v_cmp_ne_u32_e32 vcc, 63, v11
	s_waitcnt lgkmcnt(2)
	v_add_f64 v[2:3], v[2:3], v[4:5]
	v_addc_co_u32_e32 v4, vcc, 0, v10, vcc
	s_waitcnt lgkmcnt(0)
	v_add_f64 v[0:1], v[0:1], v[6:7]
	v_lshlrev_b32_e32 v7, 2, v4
	ds_bpermute_b32 v4, v7, v2
	ds_bpermute_b32 v5, v7, v3
	;; [unrolled: 1-line block ×4, first 2 shown]
	s_waitcnt lgkmcnt(2)
	v_add_f64 v[10:11], v[2:3], v[4:5]
	s_waitcnt lgkmcnt(0)
	v_add_f64 v[0:1], v[0:1], v[6:7]
	v_mul_f64 v[2:3], s[38:39], v[0:1]
	v_mul_f64 v[4:5], s[36:37], v[0:1]
	v_fma_f64 v[2:3], s[36:37], v[10:11], -v[2:3]
	v_fmac_f64_e32 v[4:5], s[38:39], v[10:11]
.LBB24_22:
	v_cmp_eq_u32_e32 vcc, 0, v9
	s_and_b64 exec, exec, vcc
	s_cbranch_execz .LBB24_26
; %bb.23:
	s_mul_i32 s0, s27, s3
	s_mul_hi_u32 s1, s26, s3
	s_add_i32 s1, s1, s0
	s_mul_i32 s0, s26, s3
	s_lshl_b64 s[0:1], s[0:1], 4
	s_add_u32 s2, s20, s0
	s_addc_u32 s3, s21, s1
	s_lshl_b64 s[0:1], s[22:23], 4
	s_add_u32 s0, s2, s0
	v_ashrrev_i32_e32 v0, 31, v8
	s_addc_u32 s1, s3, s1
	v_cmp_neq_f64_e64 s[2:3], s[28:29], 0
	v_cmp_neq_f64_e64 s[4:5], s[30:31], 0
	v_mul_lo_u32 v6, s25, v8
	v_mul_lo_u32 v7, s24, v0
	v_mad_u64_u32 v[0:1], s[6:7], s24, v8, 0
	v_add3_u32 v1, v1, v7, v6
	s_or_b64 s[2:3], s[2:3], s[4:5]
	s_andn2_b64 vcc, exec, s[2:3]
	v_lshl_add_u64 v[0:1], v[0:1], 4, s[0:1]
	s_cbranch_vccnz .LBB24_25
; %bb.24:
	global_load_dwordx4 v[6:9], v[0:1], off
	s_waitcnt vmcnt(0)
	v_mul_f64 v[10:11], s[30:31], v[8:9]
	v_mul_f64 v[8:9], s[28:29], v[8:9]
	v_fma_f64 v[10:11], s[28:29], v[6:7], -v[10:11]
	v_fmac_f64_e32 v[8:9], s[30:31], v[6:7]
	v_add_f64 v[2:3], v[2:3], v[10:11]
	v_add_f64 v[4:5], v[4:5], v[8:9]
.LBB24_25:
	global_store_dwordx4 v[0:1], v[2:5], off
.LBB24_26:
	s_endpgm
	.section	.rodata,"a",@progbits
	.p2align	6, 0x0
	.amdhsa_kernel _ZL20rocblas_gbmvn_kernelILi32ELi32E24rocblas_internal_val_ptrI19rocblas_complex_numIdEEPKS2_PS2_EvbiiiiT1_T2_lllS8_lllS7_T3_llli
		.amdhsa_group_segment_fixed_size 0
		.amdhsa_private_segment_fixed_size 0
		.amdhsa_kernarg_size 156
		.amdhsa_user_sgpr_count 2
		.amdhsa_user_sgpr_dispatch_ptr 0
		.amdhsa_user_sgpr_queue_ptr 0
		.amdhsa_user_sgpr_kernarg_segment_ptr 1
		.amdhsa_user_sgpr_dispatch_id 0
		.amdhsa_user_sgpr_kernarg_preload_length 0
		.amdhsa_user_sgpr_kernarg_preload_offset 0
		.amdhsa_user_sgpr_private_segment_size 0
		.amdhsa_uses_dynamic_stack 0
		.amdhsa_enable_private_segment 0
		.amdhsa_system_sgpr_workgroup_id_x 1
		.amdhsa_system_sgpr_workgroup_id_y 0
		.amdhsa_system_sgpr_workgroup_id_z 1
		.amdhsa_system_sgpr_workgroup_info 0
		.amdhsa_system_vgpr_workitem_id 1
		.amdhsa_next_free_vgpr 22
		.amdhsa_next_free_sgpr 44
		.amdhsa_accum_offset 24
		.amdhsa_reserve_vcc 1
		.amdhsa_float_round_mode_32 0
		.amdhsa_float_round_mode_16_64 0
		.amdhsa_float_denorm_mode_32 3
		.amdhsa_float_denorm_mode_16_64 3
		.amdhsa_dx10_clamp 1
		.amdhsa_ieee_mode 1
		.amdhsa_fp16_overflow 0
		.amdhsa_tg_split 0
		.amdhsa_exception_fp_ieee_invalid_op 0
		.amdhsa_exception_fp_denorm_src 0
		.amdhsa_exception_fp_ieee_div_zero 0
		.amdhsa_exception_fp_ieee_overflow 0
		.amdhsa_exception_fp_ieee_underflow 0
		.amdhsa_exception_fp_ieee_inexact 0
		.amdhsa_exception_int_div_zero 0
	.end_amdhsa_kernel
	.section	.text._ZL20rocblas_gbmvn_kernelILi32ELi32E24rocblas_internal_val_ptrI19rocblas_complex_numIdEEPKS2_PS2_EvbiiiiT1_T2_lllS8_lllS7_T3_llli,"axG",@progbits,_ZL20rocblas_gbmvn_kernelILi32ELi32E24rocblas_internal_val_ptrI19rocblas_complex_numIdEEPKS2_PS2_EvbiiiiT1_T2_lllS8_lllS7_T3_llli,comdat
.Lfunc_end24:
	.size	_ZL20rocblas_gbmvn_kernelILi32ELi32E24rocblas_internal_val_ptrI19rocblas_complex_numIdEEPKS2_PS2_EvbiiiiT1_T2_lllS8_lllS7_T3_llli, .Lfunc_end24-_ZL20rocblas_gbmvn_kernelILi32ELi32E24rocblas_internal_val_ptrI19rocblas_complex_numIdEEPKS2_PS2_EvbiiiiT1_T2_lllS8_lllS7_T3_llli
                                        ; -- End function
	.set _ZL20rocblas_gbmvn_kernelILi32ELi32E24rocblas_internal_val_ptrI19rocblas_complex_numIdEEPKS2_PS2_EvbiiiiT1_T2_lllS8_lllS7_T3_llli.num_vgpr, 22
	.set _ZL20rocblas_gbmvn_kernelILi32ELi32E24rocblas_internal_val_ptrI19rocblas_complex_numIdEEPKS2_PS2_EvbiiiiT1_T2_lllS8_lllS7_T3_llli.num_agpr, 0
	.set _ZL20rocblas_gbmvn_kernelILi32ELi32E24rocblas_internal_val_ptrI19rocblas_complex_numIdEEPKS2_PS2_EvbiiiiT1_T2_lllS8_lllS7_T3_llli.numbered_sgpr, 44
	.set _ZL20rocblas_gbmvn_kernelILi32ELi32E24rocblas_internal_val_ptrI19rocblas_complex_numIdEEPKS2_PS2_EvbiiiiT1_T2_lllS8_lllS7_T3_llli.num_named_barrier, 0
	.set _ZL20rocblas_gbmvn_kernelILi32ELi32E24rocblas_internal_val_ptrI19rocblas_complex_numIdEEPKS2_PS2_EvbiiiiT1_T2_lllS8_lllS7_T3_llli.private_seg_size, 0
	.set _ZL20rocblas_gbmvn_kernelILi32ELi32E24rocblas_internal_val_ptrI19rocblas_complex_numIdEEPKS2_PS2_EvbiiiiT1_T2_lllS8_lllS7_T3_llli.uses_vcc, 1
	.set _ZL20rocblas_gbmvn_kernelILi32ELi32E24rocblas_internal_val_ptrI19rocblas_complex_numIdEEPKS2_PS2_EvbiiiiT1_T2_lllS8_lllS7_T3_llli.uses_flat_scratch, 0
	.set _ZL20rocblas_gbmvn_kernelILi32ELi32E24rocblas_internal_val_ptrI19rocblas_complex_numIdEEPKS2_PS2_EvbiiiiT1_T2_lllS8_lllS7_T3_llli.has_dyn_sized_stack, 0
	.set _ZL20rocblas_gbmvn_kernelILi32ELi32E24rocblas_internal_val_ptrI19rocblas_complex_numIdEEPKS2_PS2_EvbiiiiT1_T2_lllS8_lllS7_T3_llli.has_recursion, 0
	.set _ZL20rocblas_gbmvn_kernelILi32ELi32E24rocblas_internal_val_ptrI19rocblas_complex_numIdEEPKS2_PS2_EvbiiiiT1_T2_lllS8_lllS7_T3_llli.has_indirect_call, 0
	.section	.AMDGPU.csdata,"",@progbits
; Kernel info:
; codeLenInByte = 1340
; TotalNumSgprs: 50
; NumVgprs: 22
; NumAgprs: 0
; TotalNumVgprs: 22
; ScratchSize: 0
; MemoryBound: 0
; FloatMode: 240
; IeeeMode: 1
; LDSByteSize: 0 bytes/workgroup (compile time only)
; SGPRBlocks: 6
; VGPRBlocks: 2
; NumSGPRsForWavesPerEU: 50
; NumVGPRsForWavesPerEU: 22
; AccumOffset: 24
; Occupancy: 8
; WaveLimiterHint : 1
; COMPUTE_PGM_RSRC2:SCRATCH_EN: 0
; COMPUTE_PGM_RSRC2:USER_SGPR: 2
; COMPUTE_PGM_RSRC2:TRAP_HANDLER: 0
; COMPUTE_PGM_RSRC2:TGID_X_EN: 1
; COMPUTE_PGM_RSRC2:TGID_Y_EN: 0
; COMPUTE_PGM_RSRC2:TGID_Z_EN: 1
; COMPUTE_PGM_RSRC2:TIDIG_COMP_CNT: 1
; COMPUTE_PGM_RSRC3_GFX90A:ACCUM_OFFSET: 5
; COMPUTE_PGM_RSRC3_GFX90A:TG_SPLIT: 0
	.section	.text._ZL20rocblas_gbmvn_kernelILi64ELi16E24rocblas_internal_val_ptrI19rocblas_complex_numIdEEPKS2_PS2_EvbiiiiT1_T2_lllS8_lllS7_T3_llli,"axG",@progbits,_ZL20rocblas_gbmvn_kernelILi64ELi16E24rocblas_internal_val_ptrI19rocblas_complex_numIdEEPKS2_PS2_EvbiiiiT1_T2_lllS8_lllS7_T3_llli,comdat
	.globl	_ZL20rocblas_gbmvn_kernelILi64ELi16E24rocblas_internal_val_ptrI19rocblas_complex_numIdEEPKS2_PS2_EvbiiiiT1_T2_lllS8_lllS7_T3_llli ; -- Begin function _ZL20rocblas_gbmvn_kernelILi64ELi16E24rocblas_internal_val_ptrI19rocblas_complex_numIdEEPKS2_PS2_EvbiiiiT1_T2_lllS8_lllS7_T3_llli
	.p2align	8
	.type	_ZL20rocblas_gbmvn_kernelILi64ELi16E24rocblas_internal_val_ptrI19rocblas_complex_numIdEEPKS2_PS2_EvbiiiiT1_T2_lllS8_lllS7_T3_llli,@function
_ZL20rocblas_gbmvn_kernelILi64ELi16E24rocblas_internal_val_ptrI19rocblas_complex_numIdEEPKS2_PS2_EvbiiiiT1_T2_lllS8_lllS7_T3_llli: ; @_ZL20rocblas_gbmvn_kernelILi64ELi16E24rocblas_internal_val_ptrI19rocblas_complex_numIdEEPKS2_PS2_EvbiiiiT1_T2_lllS8_lllS7_T3_llli
; %bb.0:
	s_load_dwordx4 s[40:43], s[0:1], 0x0
	s_load_dwordx2 s[6:7], s[0:1], 0x18
	s_load_dwordx4 s[24:27], s[0:1], 0x88
	s_load_dwordx8 s[16:23], s[0:1], 0x68
	s_mov_b64 s[8:9], -1
                                        ; implicit-def: $sgpr38_sgpr39
	s_waitcnt lgkmcnt(0)
	s_bitcmp1_b32 s40, 0
	s_cselect_b64 s[4:5], -1, 0
	s_xor_b64 s[4:5], s[4:5], -1
	s_and_b64 vcc, exec, s[4:5]
	s_cbranch_vccnz .LBB25_4
; %bb.1:
	s_andn2_b64 vcc, exec, s[8:9]
	s_cbranch_vccz .LBB25_5
.LBB25_2:
	s_and_b64 vcc, exec, s[4:5]
	s_cbranch_vccz .LBB25_6
.LBB25_3:
	s_load_dwordx4 s[28:31], s[16:17], 0x0
	s_cbranch_execz .LBB25_7
	s_branch .LBB25_8
.LBB25_4:
	s_load_dwordx4 s[36:39], s[6:7], 0x0
	s_cbranch_execnz .LBB25_2
.LBB25_5:
	s_waitcnt lgkmcnt(0)
	s_load_dwordx2 s[38:39], s[0:1], 0x20
	s_mov_b64 s[36:37], s[6:7]
	s_and_b64 vcc, exec, s[4:5]
	s_cbranch_vccnz .LBB25_3
.LBB25_6:
                                        ; implicit-def: $sgpr30_sgpr31
.LBB25_7:
	s_waitcnt lgkmcnt(0)
	s_mov_b64 s[28:29], s[16:17]
	s_mov_b64 s[30:31], s[18:19]
.LBB25_8:
	s_waitcnt lgkmcnt(0)
	v_cmp_neq_f64_e64 s[4:5], s[36:37], 0
	v_cmp_neq_f64_e64 s[6:7], s[38:39], 0
	s_or_b64 s[4:5], s[4:5], s[6:7]
	s_mov_b64 s[6:7], -1
	s_and_b64 vcc, exec, s[4:5]
	s_cbranch_vccnz .LBB25_10
; %bb.9:
	v_cmp_neq_f64_e64 s[6:7], s[28:29], 1.0
	v_cmp_neq_f64_e64 s[8:9], s[30:31], 0
	s_or_b64 s[6:7], s[6:7], s[8:9]
.LBB25_10:
	s_andn2_b64 vcc, exec, s[6:7]
	s_cbranch_vccnz .LBB25_26
; %bb.11:
	s_load_dword s33, s[0:1], 0x10
	v_bfe_u32 v1, v0, 10, 10
	v_lshl_add_u32 v8, s2, 4, v1
	v_cmp_gt_i32_e32 vcc, s41, v8
	s_and_saveexec_b64 s[6:7], vcc
	s_cbranch_execz .LBB25_26
; %bb.12:
	s_xor_b64 s[4:5], s[4:5], -1
	s_andn2_b64 vcc, exec, s[4:5]
	s_cbranch_vccnz .LBB25_14
; %bb.13:
	v_and_b32_e32 v9, 0x3ff, v0
	v_mov_b64_e32 v[4:5], 0
	v_mov_b64_e32 v[2:3], 0
	s_cbranch_execz .LBB25_15
	s_branch .LBB25_22
.LBB25_14:
                                        ; implicit-def: $vgpr9
	v_mov_b64_e32 v[4:5], 0
	v_mov_b64_e32 v[2:3], 0
.LBB25_15:
	v_and_b32_e32 v9, 0x3ff, v0
	v_min_i32_e32 v6, s43, v8
	s_waitcnt lgkmcnt(0)
	v_sub_u32_e32 v0, s33, v9
	v_add_u32_e32 v2, v0, v6
	v_cmp_lt_i32_e32 vcc, -1, v2
	v_mov_b64_e32 v[0:1], 0
	v_mov_b64_e32 v[4:5], 0
	s_and_saveexec_b64 s[34:35], vcc
	s_cbranch_execz .LBB25_21
; %bb.16:
	s_load_dwordx16 s[4:19], s[0:1], 0x28
	v_subrev_u32_e32 v0, s43, v8
	v_max_i32_e32 v0, 0, v0
	v_add_u32_e32 v10, v0, v9
	v_ashrrev_i32_e32 v4, 31, v10
	s_waitcnt lgkmcnt(0)
	v_mad_u64_u32 v[0:1], s[0:1], s8, v10, 0
	s_mul_i32 s0, s11, s3
	s_mul_hi_u32 s1, s10, s3
	s_add_i32 s1, s1, s0
	s_mul_i32 s0, s10, s3
	s_lshl_b64 s[0:1], s[0:1], 4
	s_lshl_b64 s[6:7], s[6:7], 4
	v_mul_lo_u32 v3, s8, v4
	v_mul_lo_u32 v5, s9, v10
	s_add_u32 s0, s6, s0
	v_add3_u32 v1, v1, v3, v5
	s_addc_u32 s1, s7, s1
	v_lshl_add_u64 v[0:1], v[0:1], 4, s[0:1]
	v_mov_b32_e32 v3, 0
	v_lshl_add_u64 v[0:1], v[2:3], 4, v[0:1]
	v_lshl_add_u64 v[0:1], s[4:5], 0, v[0:1]
	;; [unrolled: 1-line block ×3, first 2 shown]
	v_add_u32_e32 v0, s33, v6
	v_sub_u32_e32 v0, v0, v9
	s_lshl_b64 s[0:1], s[8:9], 10
	v_add_u32_e32 v11, 64, v0
	v_mad_u64_u32 v[0:1], s[4:5], s16, v10, 0
	s_add_u32 s0, s0, 0xfffffc00
	s_mul_i32 s2, s19, s3
	s_mul_hi_u32 s4, s18, s3
	s_addc_u32 s1, s1, -1
	s_add_i32 s5, s4, s2
	s_mul_i32 s4, s18, s3
	s_lshl_b64 s[4:5], s[4:5], 4
	s_lshl_b64 s[6:7], s[14:15], 4
	s_add_u32 s2, s12, s6
	s_addc_u32 s6, s13, s7
	v_mul_lo_u32 v4, s16, v4
	v_mul_lo_u32 v5, s17, v10
	s_add_u32 s4, s2, s4
	v_add3_u32 v1, v1, v4, v5
	s_addc_u32 s5, s6, s5
	v_lshl_add_u64 v[0:1], v[0:1], 4, s[4:5]
	v_lshl_add_u64 v[6:7], v[0:1], 0, 8
	s_lshl_b64 s[4:5], s[16:17], 10
	v_mov_b64_e32 v[0:1], 0
	s_mov_b64 s[6:7], 0
	v_mov_b64_e32 v[4:5], 0
	s_branch .LBB25_18
.LBB25_17:                              ;   in Loop: Header=BB25_18 Depth=1
	s_or_b64 exec, exec, s[8:9]
	v_subrev_u32_e32 v11, 64, v11
	v_cmp_gt_u32_e32 vcc, 64, v11
	v_add_u32_e32 v10, 64, v10
	v_lshl_add_u64 v[2:3], v[2:3], 0, s[0:1]
	s_or_b64 s[6:7], vcc, s[6:7]
	v_lshl_add_u64 v[6:7], v[6:7], 0, s[4:5]
	s_andn2_b64 exec, exec, s[6:7]
	s_cbranch_execz .LBB25_20
.LBB25_18:                              ; =>This Inner Loop Header: Depth=1
	v_cmp_gt_i32_e32 vcc, s42, v10
	s_and_saveexec_b64 s[8:9], vcc
	s_cbranch_execz .LBB25_17
; %bb.19:                               ;   in Loop: Header=BB25_18 Depth=1
	global_load_dwordx4 v[12:15], v[6:7], off offset:-8
	global_load_dwordx4 v[16:19], v[2:3], off offset:-8
	s_waitcnt vmcnt(0)
	v_mul_f64 v[20:21], v[14:15], v[18:19]
	v_mul_f64 v[18:19], v[12:13], v[18:19]
	v_fma_f64 v[12:13], v[12:13], v[16:17], -v[20:21]
	v_fmac_f64_e32 v[18:19], v[14:15], v[16:17]
	v_add_f64 v[4:5], v[4:5], v[12:13]
	v_add_f64 v[0:1], v[0:1], v[18:19]
	s_branch .LBB25_17
.LBB25_20:
	s_or_b64 exec, exec, s[6:7]
.LBB25_21:
	s_or_b64 exec, exec, s[34:35]
	v_mbcnt_lo_u32_b32 v2, -1, 0
	v_mbcnt_hi_u32_b32 v10, -1, v2
	v_mov_b32_e32 v2, 0x80
	v_lshl_or_b32 v7, v10, 2, v2
	ds_bpermute_b32 v2, v7, v4
	ds_bpermute_b32 v3, v7, v5
	;; [unrolled: 1-line block ×4, first 2 shown]
	v_and_b32_e32 v11, 63, v10
	v_cmp_gt_u32_e32 vcc, 48, v11
	s_waitcnt lgkmcnt(2)
	v_add_f64 v[2:3], v[4:5], v[2:3]
	s_waitcnt lgkmcnt(0)
	v_cndmask_b32_e64 v4, 0, 16, vcc
	v_add_f64 v[0:1], v[0:1], v[6:7]
	v_add_lshl_u32 v7, v4, v10, 2
	ds_bpermute_b32 v4, v7, v2
	ds_bpermute_b32 v5, v7, v3
	;; [unrolled: 1-line block ×4, first 2 shown]
	v_cmp_gt_u32_e32 vcc, 56, v11
	s_barrier
	s_waitcnt lgkmcnt(2)
	v_add_f64 v[2:3], v[2:3], v[4:5]
	v_cndmask_b32_e64 v4, 0, 8, vcc
	s_waitcnt lgkmcnt(0)
	v_add_f64 v[0:1], v[0:1], v[6:7]
	v_add_lshl_u32 v7, v4, v10, 2
	ds_bpermute_b32 v4, v7, v2
	ds_bpermute_b32 v5, v7, v3
	;; [unrolled: 1-line block ×4, first 2 shown]
	v_cmp_gt_u32_e32 vcc, 60, v11
	s_waitcnt lgkmcnt(0)
	v_add_f64 v[2:3], v[2:3], v[4:5]
	v_cndmask_b32_e64 v4, 0, 4, vcc
	v_add_f64 v[0:1], v[0:1], v[6:7]
	v_add_lshl_u32 v7, v4, v10, 2
	ds_bpermute_b32 v4, v7, v2
	ds_bpermute_b32 v5, v7, v3
	;; [unrolled: 1-line block ×4, first 2 shown]
	v_cmp_gt_u32_e32 vcc, 62, v11
	s_waitcnt lgkmcnt(2)
	v_add_f64 v[2:3], v[2:3], v[4:5]
	v_cndmask_b32_e64 v4, 0, 2, vcc
	s_waitcnt lgkmcnt(0)
	v_add_f64 v[0:1], v[0:1], v[6:7]
	v_add_lshl_u32 v7, v4, v10, 2
	ds_bpermute_b32 v4, v7, v2
	ds_bpermute_b32 v5, v7, v3
	;; [unrolled: 1-line block ×4, first 2 shown]
	v_cmp_ne_u32_e32 vcc, 63, v11
	s_waitcnt lgkmcnt(2)
	v_add_f64 v[2:3], v[2:3], v[4:5]
	v_addc_co_u32_e32 v4, vcc, 0, v10, vcc
	s_waitcnt lgkmcnt(0)
	v_add_f64 v[0:1], v[0:1], v[6:7]
	v_lshlrev_b32_e32 v7, 2, v4
	ds_bpermute_b32 v4, v7, v2
	ds_bpermute_b32 v5, v7, v3
	;; [unrolled: 1-line block ×4, first 2 shown]
	s_waitcnt lgkmcnt(2)
	v_add_f64 v[10:11], v[2:3], v[4:5]
	s_waitcnt lgkmcnt(0)
	v_add_f64 v[0:1], v[0:1], v[6:7]
	v_mul_f64 v[2:3], s[38:39], v[0:1]
	v_mul_f64 v[4:5], s[36:37], v[0:1]
	v_fma_f64 v[2:3], s[36:37], v[10:11], -v[2:3]
	v_fmac_f64_e32 v[4:5], s[38:39], v[10:11]
.LBB25_22:
	v_cmp_eq_u32_e32 vcc, 0, v9
	s_and_b64 exec, exec, vcc
	s_cbranch_execz .LBB25_26
; %bb.23:
	s_mul_i32 s0, s27, s3
	s_mul_hi_u32 s1, s26, s3
	s_add_i32 s1, s1, s0
	s_mul_i32 s0, s26, s3
	s_lshl_b64 s[0:1], s[0:1], 4
	s_add_u32 s2, s20, s0
	s_addc_u32 s3, s21, s1
	s_lshl_b64 s[0:1], s[22:23], 4
	s_add_u32 s0, s2, s0
	v_ashrrev_i32_e32 v0, 31, v8
	s_addc_u32 s1, s3, s1
	v_cmp_neq_f64_e64 s[2:3], s[28:29], 0
	v_cmp_neq_f64_e64 s[4:5], s[30:31], 0
	v_mul_lo_u32 v6, s25, v8
	v_mul_lo_u32 v7, s24, v0
	v_mad_u64_u32 v[0:1], s[6:7], s24, v8, 0
	v_add3_u32 v1, v1, v7, v6
	s_or_b64 s[2:3], s[2:3], s[4:5]
	s_andn2_b64 vcc, exec, s[2:3]
	v_lshl_add_u64 v[0:1], v[0:1], 4, s[0:1]
	s_cbranch_vccnz .LBB25_25
; %bb.24:
	global_load_dwordx4 v[6:9], v[0:1], off
	s_waitcnt vmcnt(0)
	v_mul_f64 v[10:11], s[30:31], v[8:9]
	v_mul_f64 v[8:9], s[28:29], v[8:9]
	v_fma_f64 v[10:11], s[28:29], v[6:7], -v[10:11]
	v_fmac_f64_e32 v[8:9], s[30:31], v[6:7]
	v_add_f64 v[2:3], v[2:3], v[10:11]
	v_add_f64 v[4:5], v[4:5], v[8:9]
.LBB25_25:
	global_store_dwordx4 v[0:1], v[2:5], off
.LBB25_26:
	s_endpgm
	.section	.rodata,"a",@progbits
	.p2align	6, 0x0
	.amdhsa_kernel _ZL20rocblas_gbmvn_kernelILi64ELi16E24rocblas_internal_val_ptrI19rocblas_complex_numIdEEPKS2_PS2_EvbiiiiT1_T2_lllS8_lllS7_T3_llli
		.amdhsa_group_segment_fixed_size 0
		.amdhsa_private_segment_fixed_size 0
		.amdhsa_kernarg_size 156
		.amdhsa_user_sgpr_count 2
		.amdhsa_user_sgpr_dispatch_ptr 0
		.amdhsa_user_sgpr_queue_ptr 0
		.amdhsa_user_sgpr_kernarg_segment_ptr 1
		.amdhsa_user_sgpr_dispatch_id 0
		.amdhsa_user_sgpr_kernarg_preload_length 0
		.amdhsa_user_sgpr_kernarg_preload_offset 0
		.amdhsa_user_sgpr_private_segment_size 0
		.amdhsa_uses_dynamic_stack 0
		.amdhsa_enable_private_segment 0
		.amdhsa_system_sgpr_workgroup_id_x 1
		.amdhsa_system_sgpr_workgroup_id_y 0
		.amdhsa_system_sgpr_workgroup_id_z 1
		.amdhsa_system_sgpr_workgroup_info 0
		.amdhsa_system_vgpr_workitem_id 1
		.amdhsa_next_free_vgpr 22
		.amdhsa_next_free_sgpr 44
		.amdhsa_accum_offset 24
		.amdhsa_reserve_vcc 1
		.amdhsa_float_round_mode_32 0
		.amdhsa_float_round_mode_16_64 0
		.amdhsa_float_denorm_mode_32 3
		.amdhsa_float_denorm_mode_16_64 3
		.amdhsa_dx10_clamp 1
		.amdhsa_ieee_mode 1
		.amdhsa_fp16_overflow 0
		.amdhsa_tg_split 0
		.amdhsa_exception_fp_ieee_invalid_op 0
		.amdhsa_exception_fp_denorm_src 0
		.amdhsa_exception_fp_ieee_div_zero 0
		.amdhsa_exception_fp_ieee_overflow 0
		.amdhsa_exception_fp_ieee_underflow 0
		.amdhsa_exception_fp_ieee_inexact 0
		.amdhsa_exception_int_div_zero 0
	.end_amdhsa_kernel
	.section	.text._ZL20rocblas_gbmvn_kernelILi64ELi16E24rocblas_internal_val_ptrI19rocblas_complex_numIdEEPKS2_PS2_EvbiiiiT1_T2_lllS8_lllS7_T3_llli,"axG",@progbits,_ZL20rocblas_gbmvn_kernelILi64ELi16E24rocblas_internal_val_ptrI19rocblas_complex_numIdEEPKS2_PS2_EvbiiiiT1_T2_lllS8_lllS7_T3_llli,comdat
.Lfunc_end25:
	.size	_ZL20rocblas_gbmvn_kernelILi64ELi16E24rocblas_internal_val_ptrI19rocblas_complex_numIdEEPKS2_PS2_EvbiiiiT1_T2_lllS8_lllS7_T3_llli, .Lfunc_end25-_ZL20rocblas_gbmvn_kernelILi64ELi16E24rocblas_internal_val_ptrI19rocblas_complex_numIdEEPKS2_PS2_EvbiiiiT1_T2_lllS8_lllS7_T3_llli
                                        ; -- End function
	.set _ZL20rocblas_gbmvn_kernelILi64ELi16E24rocblas_internal_val_ptrI19rocblas_complex_numIdEEPKS2_PS2_EvbiiiiT1_T2_lllS8_lllS7_T3_llli.num_vgpr, 22
	.set _ZL20rocblas_gbmvn_kernelILi64ELi16E24rocblas_internal_val_ptrI19rocblas_complex_numIdEEPKS2_PS2_EvbiiiiT1_T2_lllS8_lllS7_T3_llli.num_agpr, 0
	.set _ZL20rocblas_gbmvn_kernelILi64ELi16E24rocblas_internal_val_ptrI19rocblas_complex_numIdEEPKS2_PS2_EvbiiiiT1_T2_lllS8_lllS7_T3_llli.numbered_sgpr, 44
	.set _ZL20rocblas_gbmvn_kernelILi64ELi16E24rocblas_internal_val_ptrI19rocblas_complex_numIdEEPKS2_PS2_EvbiiiiT1_T2_lllS8_lllS7_T3_llli.num_named_barrier, 0
	.set _ZL20rocblas_gbmvn_kernelILi64ELi16E24rocblas_internal_val_ptrI19rocblas_complex_numIdEEPKS2_PS2_EvbiiiiT1_T2_lllS8_lllS7_T3_llli.private_seg_size, 0
	.set _ZL20rocblas_gbmvn_kernelILi64ELi16E24rocblas_internal_val_ptrI19rocblas_complex_numIdEEPKS2_PS2_EvbiiiiT1_T2_lllS8_lllS7_T3_llli.uses_vcc, 1
	.set _ZL20rocblas_gbmvn_kernelILi64ELi16E24rocblas_internal_val_ptrI19rocblas_complex_numIdEEPKS2_PS2_EvbiiiiT1_T2_lllS8_lllS7_T3_llli.uses_flat_scratch, 0
	.set _ZL20rocblas_gbmvn_kernelILi64ELi16E24rocblas_internal_val_ptrI19rocblas_complex_numIdEEPKS2_PS2_EvbiiiiT1_T2_lllS8_lllS7_T3_llli.has_dyn_sized_stack, 0
	.set _ZL20rocblas_gbmvn_kernelILi64ELi16E24rocblas_internal_val_ptrI19rocblas_complex_numIdEEPKS2_PS2_EvbiiiiT1_T2_lllS8_lllS7_T3_llli.has_recursion, 0
	.set _ZL20rocblas_gbmvn_kernelILi64ELi16E24rocblas_internal_val_ptrI19rocblas_complex_numIdEEPKS2_PS2_EvbiiiiT1_T2_lllS8_lllS7_T3_llli.has_indirect_call, 0
	.section	.AMDGPU.csdata,"",@progbits
; Kernel info:
; codeLenInByte = 1408
; TotalNumSgprs: 50
; NumVgprs: 22
; NumAgprs: 0
; TotalNumVgprs: 22
; ScratchSize: 0
; MemoryBound: 0
; FloatMode: 240
; IeeeMode: 1
; LDSByteSize: 0 bytes/workgroup (compile time only)
; SGPRBlocks: 6
; VGPRBlocks: 2
; NumSGPRsForWavesPerEU: 50
; NumVGPRsForWavesPerEU: 22
; AccumOffset: 24
; Occupancy: 8
; WaveLimiterHint : 1
; COMPUTE_PGM_RSRC2:SCRATCH_EN: 0
; COMPUTE_PGM_RSRC2:USER_SGPR: 2
; COMPUTE_PGM_RSRC2:TRAP_HANDLER: 0
; COMPUTE_PGM_RSRC2:TGID_X_EN: 1
; COMPUTE_PGM_RSRC2:TGID_Y_EN: 0
; COMPUTE_PGM_RSRC2:TGID_Z_EN: 1
; COMPUTE_PGM_RSRC2:TIDIG_COMP_CNT: 1
; COMPUTE_PGM_RSRC3_GFX90A:ACCUM_OFFSET: 5
; COMPUTE_PGM_RSRC3_GFX90A:TG_SPLIT: 0
	.section	.text._ZL20rocblas_gbmvt_kernelILi32ELi32E24rocblas_internal_val_ptrI19rocblas_complex_numIdEEPKS2_PS2_Evb18rocblas_operation_iiiiT1_T2_lllS9_lllS8_T3_llli,"axG",@progbits,_ZL20rocblas_gbmvt_kernelILi32ELi32E24rocblas_internal_val_ptrI19rocblas_complex_numIdEEPKS2_PS2_Evb18rocblas_operation_iiiiT1_T2_lllS9_lllS8_T3_llli,comdat
	.globl	_ZL20rocblas_gbmvt_kernelILi32ELi32E24rocblas_internal_val_ptrI19rocblas_complex_numIdEEPKS2_PS2_Evb18rocblas_operation_iiiiT1_T2_lllS9_lllS8_T3_llli ; -- Begin function _ZL20rocblas_gbmvt_kernelILi32ELi32E24rocblas_internal_val_ptrI19rocblas_complex_numIdEEPKS2_PS2_Evb18rocblas_operation_iiiiT1_T2_lllS9_lllS8_T3_llli
	.p2align	8
	.type	_ZL20rocblas_gbmvt_kernelILi32ELi32E24rocblas_internal_val_ptrI19rocblas_complex_numIdEEPKS2_PS2_Evb18rocblas_operation_iiiiT1_T2_lllS9_lllS8_T3_llli,@function
_ZL20rocblas_gbmvt_kernelILi32ELi32E24rocblas_internal_val_ptrI19rocblas_complex_numIdEEPKS2_PS2_Evb18rocblas_operation_iiiiT1_T2_lllS9_lllS8_T3_llli: ; @_ZL20rocblas_gbmvt_kernelILi32ELi32E24rocblas_internal_val_ptrI19rocblas_complex_numIdEEPKS2_PS2_Evb18rocblas_operation_iiiiT1_T2_lllS9_lllS8_T3_llli
; %bb.0:
	s_load_dwordx4 s[40:43], s[0:1], 0x0
	s_load_dwordx2 s[6:7], s[0:1], 0x18
	s_load_dwordx4 s[24:27], s[0:1], 0x88
	s_load_dwordx8 s[16:23], s[0:1], 0x68
	s_mov_b64 s[8:9], -1
                                        ; implicit-def: $sgpr38_sgpr39
	s_waitcnt lgkmcnt(0)
	s_bitcmp1_b32 s40, 0
	s_cselect_b64 s[4:5], -1, 0
	s_xor_b64 s[4:5], s[4:5], -1
	s_and_b64 vcc, exec, s[4:5]
	s_cbranch_vccnz .LBB26_4
; %bb.1:
	s_andn2_b64 vcc, exec, s[8:9]
	s_cbranch_vccz .LBB26_5
.LBB26_2:
	s_and_b64 vcc, exec, s[4:5]
	s_cbranch_vccz .LBB26_6
.LBB26_3:
	s_load_dwordx4 s[28:31], s[16:17], 0x0
	s_cbranch_execz .LBB26_7
	s_branch .LBB26_8
.LBB26_4:
	s_load_dwordx4 s[36:39], s[6:7], 0x0
	s_cbranch_execnz .LBB26_2
.LBB26_5:
	s_waitcnt lgkmcnt(0)
	s_load_dwordx2 s[38:39], s[0:1], 0x20
	s_mov_b64 s[36:37], s[6:7]
	s_and_b64 vcc, exec, s[4:5]
	s_cbranch_vccnz .LBB26_3
.LBB26_6:
                                        ; implicit-def: $sgpr30_sgpr31
.LBB26_7:
	s_waitcnt lgkmcnt(0)
	s_mov_b64 s[28:29], s[16:17]
	s_mov_b64 s[30:31], s[18:19]
.LBB26_8:
	s_waitcnt lgkmcnt(0)
	v_cmp_neq_f64_e64 s[4:5], s[36:37], 0
	v_cmp_neq_f64_e64 s[6:7], s[38:39], 0
	s_or_b64 s[4:5], s[4:5], s[6:7]
	s_mov_b64 s[6:7], -1
	s_and_b64 vcc, exec, s[4:5]
	s_cbranch_vccnz .LBB26_10
; %bb.9:
	v_cmp_neq_f64_e64 s[6:7], s[28:29], 1.0
	v_cmp_neq_f64_e64 s[8:9], s[30:31], 0
	s_or_b64 s[6:7], s[6:7], s[8:9]
.LBB26_10:
	s_andn2_b64 vcc, exec, s[6:7]
	s_cbranch_vccnz .LBB26_28
; %bb.11:
	s_load_dwordx2 s[34:35], s[0:1], 0x10
	v_bfe_u32 v1, v0, 10, 10
	v_lshl_add_u32 v8, s2, 5, v1
	v_cmp_gt_i32_e32 vcc, s43, v8
	s_and_saveexec_b64 s[6:7], vcc
	s_cbranch_execz .LBB26_28
; %bb.12:
	s_xor_b64 s[4:5], s[4:5], -1
	s_andn2_b64 vcc, exec, s[4:5]
	s_cbranch_vccnz .LBB26_14
; %bb.13:
	v_and_b32_e32 v9, 0x3ff, v0
	v_mov_b64_e32 v[4:5], 0
	v_mov_b64_e32 v[2:3], 0
	s_cbranch_execz .LBB26_15
	s_branch .LBB26_24
.LBB26_14:
                                        ; implicit-def: $vgpr9
	v_mov_b64_e32 v[4:5], 0
	v_mov_b64_e32 v[2:3], 0
.LBB26_15:
	v_and_b32_e32 v9, 0x3ff, v0
	s_waitcnt lgkmcnt(0)
	s_add_i32 s2, s35, s34
	v_cmp_ge_i32_e32 vcc, s2, v9
	v_mov_b64_e32 v[0:1], 0
	v_mov_b64_e32 v[4:5], 0
	s_and_saveexec_b64 s[44:45], vcc
	s_cbranch_execz .LBB26_23
; %bb.16:
	s_load_dwordx16 s[4:19], s[0:1], 0x28
	s_cmpk_eq_i32 s41, 0x71
	s_cselect_b64 vcc, -1, 0
	v_ashrrev_i32_e32 v4, 31, v8
	v_sub_u32_e32 v10, s35, v9
	s_waitcnt lgkmcnt(0)
	v_mad_u64_u32 v[0:1], s[0:1], s8, v8, 0
	s_mul_i32 s0, s11, s3
	s_mul_hi_u32 s1, s10, s3
	s_add_i32 s1, s1, s0
	s_mul_i32 s0, s10, s3
	s_lshl_b64 s[0:1], s[0:1], 4
	s_lshl_b64 s[6:7], s[6:7], 4
	v_mul_lo_u32 v2, s9, v8
	v_mul_lo_u32 v3, s8, v4
	s_add_u32 s0, s6, s0
	v_add3_u32 v1, v1, v3, v2
	s_addc_u32 s1, s7, s1
	v_lshl_add_u64 v[0:1], v[0:1], 4, s[0:1]
	v_lshlrev_b32_e32 v2, 4, v9
	v_mov_b32_e32 v3, 0
	v_lshl_add_u64 v[0:1], v[0:1], 0, v[2:3]
	v_lshl_add_u64 v[0:1], s[4:5], 0, v[0:1]
	v_lshl_add_u64 v[2:3], v[0:1], 0, 8
	v_ashrrev_i32_e32 v0, 31, v10
	v_sub_co_u32_e64 v1, s[0:1], v8, v10
	s_lshl_b64 s[4:5], s[14:15], 4
	s_nop 0
	v_subb_co_u32_e64 v0, s[0:1], v4, v0, s[0:1]
	v_mul_lo_u32 v4, s17, v1
	v_mul_lo_u32 v5, s16, v0
	v_mad_u64_u32 v[0:1], s[0:1], s16, v1, 0
	s_mul_i32 s0, s19, s3
	s_mul_hi_u32 s1, s18, s3
	s_add_i32 s1, s1, s0
	s_mul_i32 s0, s18, s3
	s_lshl_b64 s[0:1], s[0:1], 4
	s_add_u32 s4, s12, s4
	s_addc_u32 s5, s13, s5
	s_add_u32 s0, s4, s0
	v_add3_u32 v1, v1, v5, v4
	s_addc_u32 s1, s5, s1
	v_lshl_add_u64 v[0:1], v[0:1], 4, s[0:1]
	v_lshl_add_u64 v[6:7], v[0:1], 0, 8
	s_lshl_b64 s[6:7], s[16:17], 9
	v_mov_b64_e32 v[0:1], 0
	s_mov_b64 s[8:9], 0
	s_mov_b64 s[10:11], 0x200
	v_mov_b32_e32 v11, v9
	v_mov_b64_e32 v[4:5], 0
	s_branch .LBB26_19
.LBB26_17:                              ;   in Loop: Header=BB26_19 Depth=1
	s_or_b64 exec, exec, s[0:1]
.LBB26_18:                              ;   in Loop: Header=BB26_19 Depth=1
	s_or_b64 exec, exec, s[12:13]
	v_add_u32_e32 v11, 32, v11
	v_cmp_lt_i32_e64 s[0:1], s2, v11
	v_subrev_u32_e32 v10, 32, v10
	v_lshl_add_u64 v[2:3], v[2:3], 0, s[10:11]
	s_or_b64 s[8:9], s[0:1], s[8:9]
	v_lshl_add_u64 v[6:7], v[6:7], 0, s[6:7]
	s_andn2_b64 exec, exec, s[8:9]
	s_cbranch_execz .LBB26_22
.LBB26_19:                              ; =>This Inner Loop Header: Depth=1
	v_add_u32_e32 v12, s42, v10
	v_cmp_lt_i32_e64 s[0:1], v8, v12
	s_and_saveexec_b64 s[12:13], s[0:1]
	s_cbranch_execz .LBB26_18
; %bb.20:                               ;   in Loop: Header=BB26_19 Depth=1
	v_cmp_lt_i32_e64 s[0:1], s35, v11
	v_cmp_ge_i32_e64 s[4:5], v8, v10
	s_or_b64 s[4:5], s[0:1], s[4:5]
	s_and_saveexec_b64 s[0:1], s[4:5]
	s_cbranch_execz .LBB26_17
; %bb.21:                               ;   in Loop: Header=BB26_19 Depth=1
	global_load_dwordx4 v[12:15], v[2:3], off offset:-8
	global_load_dwordx4 v[16:19], v[6:7], off offset:-8
	s_waitcnt vmcnt(1)
	v_xor_b32_e32 v22, 0x80000000, v15
	v_cndmask_b32_e32 v15, v15, v22, vcc
	s_waitcnt vmcnt(0)
	v_mul_f64 v[20:21], v[12:13], v[18:19]
	v_mul_f64 v[18:19], v[14:15], v[18:19]
	v_fmac_f64_e32 v[20:21], v[14:15], v[16:17]
	v_fma_f64 v[12:13], v[12:13], v[16:17], -v[18:19]
	v_add_f64 v[4:5], v[4:5], v[12:13]
	v_add_f64 v[0:1], v[0:1], v[20:21]
	s_branch .LBB26_17
.LBB26_22:
	s_or_b64 exec, exec, s[8:9]
.LBB26_23:
	s_or_b64 exec, exec, s[44:45]
	v_mbcnt_lo_u32_b32 v2, -1, 0
	v_mbcnt_hi_u32_b32 v10, -1, v2
	v_and_b32_e32 v11, 63, v10
	v_cmp_gt_u32_e32 vcc, 48, v11
	s_barrier
	s_nop 0
	v_cndmask_b32_e64 v2, 0, 16, vcc
	v_add_lshl_u32 v7, v2, v10, 2
	ds_bpermute_b32 v2, v7, v4
	ds_bpermute_b32 v3, v7, v5
	;; [unrolled: 1-line block ×4, first 2 shown]
	v_cmp_gt_u32_e32 vcc, 56, v11
	s_waitcnt lgkmcnt(0)
	v_add_f64 v[2:3], v[4:5], v[2:3]
	v_cndmask_b32_e64 v4, 0, 8, vcc
	v_add_f64 v[0:1], v[0:1], v[6:7]
	v_add_lshl_u32 v7, v4, v10, 2
	ds_bpermute_b32 v4, v7, v2
	ds_bpermute_b32 v5, v7, v3
	;; [unrolled: 1-line block ×4, first 2 shown]
	v_cmp_gt_u32_e32 vcc, 60, v11
	s_waitcnt lgkmcnt(2)
	v_add_f64 v[2:3], v[2:3], v[4:5]
	v_cndmask_b32_e64 v4, 0, 4, vcc
	s_waitcnt lgkmcnt(0)
	v_add_f64 v[0:1], v[0:1], v[6:7]
	v_add_lshl_u32 v7, v4, v10, 2
	ds_bpermute_b32 v4, v7, v2
	ds_bpermute_b32 v5, v7, v3
	;; [unrolled: 1-line block ×4, first 2 shown]
	v_cmp_gt_u32_e32 vcc, 62, v11
	s_waitcnt lgkmcnt(2)
	v_add_f64 v[2:3], v[2:3], v[4:5]
	v_cndmask_b32_e64 v4, 0, 2, vcc
	s_waitcnt lgkmcnt(0)
	v_add_f64 v[0:1], v[0:1], v[6:7]
	v_add_lshl_u32 v7, v4, v10, 2
	ds_bpermute_b32 v4, v7, v2
	ds_bpermute_b32 v5, v7, v3
	;; [unrolled: 1-line block ×4, first 2 shown]
	v_cmp_ne_u32_e32 vcc, 63, v11
	s_waitcnt lgkmcnt(2)
	v_add_f64 v[2:3], v[2:3], v[4:5]
	v_addc_co_u32_e32 v4, vcc, 0, v10, vcc
	s_waitcnt lgkmcnt(0)
	v_add_f64 v[0:1], v[0:1], v[6:7]
	v_lshlrev_b32_e32 v7, 2, v4
	ds_bpermute_b32 v4, v7, v2
	ds_bpermute_b32 v5, v7, v3
	;; [unrolled: 1-line block ×4, first 2 shown]
	s_waitcnt lgkmcnt(2)
	v_add_f64 v[10:11], v[2:3], v[4:5]
	s_waitcnt lgkmcnt(0)
	v_add_f64 v[0:1], v[0:1], v[6:7]
	v_mul_f64 v[2:3], s[38:39], v[0:1]
	v_mul_f64 v[4:5], s[36:37], v[0:1]
	v_fma_f64 v[2:3], s[36:37], v[10:11], -v[2:3]
	v_fmac_f64_e32 v[4:5], s[38:39], v[10:11]
.LBB26_24:
	v_cmp_eq_u32_e32 vcc, 0, v9
	s_and_b64 exec, exec, vcc
	s_cbranch_execz .LBB26_28
; %bb.25:
	s_mul_i32 s0, s27, s3
	s_mul_hi_u32 s1, s26, s3
	s_add_i32 s1, s1, s0
	s_mul_i32 s0, s26, s3
	s_lshl_b64 s[0:1], s[0:1], 4
	s_add_u32 s2, s20, s0
	s_addc_u32 s3, s21, s1
	s_lshl_b64 s[0:1], s[22:23], 4
	s_add_u32 s0, s2, s0
	v_ashrrev_i32_e32 v0, 31, v8
	s_addc_u32 s1, s3, s1
	v_cmp_neq_f64_e64 s[2:3], s[28:29], 0
	v_cmp_neq_f64_e64 s[4:5], s[30:31], 0
	v_mul_lo_u32 v6, s25, v8
	v_mul_lo_u32 v7, s24, v0
	v_mad_u64_u32 v[0:1], s[6:7], s24, v8, 0
	v_add3_u32 v1, v1, v7, v6
	s_or_b64 s[2:3], s[2:3], s[4:5]
	s_andn2_b64 vcc, exec, s[2:3]
	v_lshl_add_u64 v[0:1], v[0:1], 4, s[0:1]
	s_cbranch_vccnz .LBB26_27
; %bb.26:
	global_load_dwordx4 v[6:9], v[0:1], off
	s_waitcnt vmcnt(0)
	v_mul_f64 v[10:11], s[30:31], v[8:9]
	v_mul_f64 v[8:9], s[28:29], v[8:9]
	v_fma_f64 v[10:11], s[28:29], v[6:7], -v[10:11]
	v_fmac_f64_e32 v[8:9], s[30:31], v[6:7]
	v_add_f64 v[2:3], v[2:3], v[10:11]
	v_add_f64 v[4:5], v[4:5], v[8:9]
.LBB26_27:
	global_store_dwordx4 v[0:1], v[2:5], off
.LBB26_28:
	s_endpgm
	.section	.rodata,"a",@progbits
	.p2align	6, 0x0
	.amdhsa_kernel _ZL20rocblas_gbmvt_kernelILi32ELi32E24rocblas_internal_val_ptrI19rocblas_complex_numIdEEPKS2_PS2_Evb18rocblas_operation_iiiiT1_T2_lllS9_lllS8_T3_llli
		.amdhsa_group_segment_fixed_size 0
		.amdhsa_private_segment_fixed_size 0
		.amdhsa_kernarg_size 156
		.amdhsa_user_sgpr_count 2
		.amdhsa_user_sgpr_dispatch_ptr 0
		.amdhsa_user_sgpr_queue_ptr 0
		.amdhsa_user_sgpr_kernarg_segment_ptr 1
		.amdhsa_user_sgpr_dispatch_id 0
		.amdhsa_user_sgpr_kernarg_preload_length 0
		.amdhsa_user_sgpr_kernarg_preload_offset 0
		.amdhsa_user_sgpr_private_segment_size 0
		.amdhsa_uses_dynamic_stack 0
		.amdhsa_enable_private_segment 0
		.amdhsa_system_sgpr_workgroup_id_x 1
		.amdhsa_system_sgpr_workgroup_id_y 0
		.amdhsa_system_sgpr_workgroup_id_z 1
		.amdhsa_system_sgpr_workgroup_info 0
		.amdhsa_system_vgpr_workitem_id 1
		.amdhsa_next_free_vgpr 23
		.amdhsa_next_free_sgpr 46
		.amdhsa_accum_offset 24
		.amdhsa_reserve_vcc 1
		.amdhsa_float_round_mode_32 0
		.amdhsa_float_round_mode_16_64 0
		.amdhsa_float_denorm_mode_32 3
		.amdhsa_float_denorm_mode_16_64 3
		.amdhsa_dx10_clamp 1
		.amdhsa_ieee_mode 1
		.amdhsa_fp16_overflow 0
		.amdhsa_tg_split 0
		.amdhsa_exception_fp_ieee_invalid_op 0
		.amdhsa_exception_fp_denorm_src 0
		.amdhsa_exception_fp_ieee_div_zero 0
		.amdhsa_exception_fp_ieee_overflow 0
		.amdhsa_exception_fp_ieee_underflow 0
		.amdhsa_exception_fp_ieee_inexact 0
		.amdhsa_exception_int_div_zero 0
	.end_amdhsa_kernel
	.section	.text._ZL20rocblas_gbmvt_kernelILi32ELi32E24rocblas_internal_val_ptrI19rocblas_complex_numIdEEPKS2_PS2_Evb18rocblas_operation_iiiiT1_T2_lllS9_lllS8_T3_llli,"axG",@progbits,_ZL20rocblas_gbmvt_kernelILi32ELi32E24rocblas_internal_val_ptrI19rocblas_complex_numIdEEPKS2_PS2_Evb18rocblas_operation_iiiiT1_T2_lllS9_lllS8_T3_llli,comdat
.Lfunc_end26:
	.size	_ZL20rocblas_gbmvt_kernelILi32ELi32E24rocblas_internal_val_ptrI19rocblas_complex_numIdEEPKS2_PS2_Evb18rocblas_operation_iiiiT1_T2_lllS9_lllS8_T3_llli, .Lfunc_end26-_ZL20rocblas_gbmvt_kernelILi32ELi32E24rocblas_internal_val_ptrI19rocblas_complex_numIdEEPKS2_PS2_Evb18rocblas_operation_iiiiT1_T2_lllS9_lllS8_T3_llli
                                        ; -- End function
	.set _ZL20rocblas_gbmvt_kernelILi32ELi32E24rocblas_internal_val_ptrI19rocblas_complex_numIdEEPKS2_PS2_Evb18rocblas_operation_iiiiT1_T2_lllS9_lllS8_T3_llli.num_vgpr, 23
	.set _ZL20rocblas_gbmvt_kernelILi32ELi32E24rocblas_internal_val_ptrI19rocblas_complex_numIdEEPKS2_PS2_Evb18rocblas_operation_iiiiT1_T2_lllS9_lllS8_T3_llli.num_agpr, 0
	.set _ZL20rocblas_gbmvt_kernelILi32ELi32E24rocblas_internal_val_ptrI19rocblas_complex_numIdEEPKS2_PS2_Evb18rocblas_operation_iiiiT1_T2_lllS9_lllS8_T3_llli.numbered_sgpr, 46
	.set _ZL20rocblas_gbmvt_kernelILi32ELi32E24rocblas_internal_val_ptrI19rocblas_complex_numIdEEPKS2_PS2_Evb18rocblas_operation_iiiiT1_T2_lllS9_lllS8_T3_llli.num_named_barrier, 0
	.set _ZL20rocblas_gbmvt_kernelILi32ELi32E24rocblas_internal_val_ptrI19rocblas_complex_numIdEEPKS2_PS2_Evb18rocblas_operation_iiiiT1_T2_lllS9_lllS8_T3_llli.private_seg_size, 0
	.set _ZL20rocblas_gbmvt_kernelILi32ELi32E24rocblas_internal_val_ptrI19rocblas_complex_numIdEEPKS2_PS2_Evb18rocblas_operation_iiiiT1_T2_lllS9_lllS8_T3_llli.uses_vcc, 1
	.set _ZL20rocblas_gbmvt_kernelILi32ELi32E24rocblas_internal_val_ptrI19rocblas_complex_numIdEEPKS2_PS2_Evb18rocblas_operation_iiiiT1_T2_lllS9_lllS8_T3_llli.uses_flat_scratch, 0
	.set _ZL20rocblas_gbmvt_kernelILi32ELi32E24rocblas_internal_val_ptrI19rocblas_complex_numIdEEPKS2_PS2_Evb18rocblas_operation_iiiiT1_T2_lllS9_lllS8_T3_llli.has_dyn_sized_stack, 0
	.set _ZL20rocblas_gbmvt_kernelILi32ELi32E24rocblas_internal_val_ptrI19rocblas_complex_numIdEEPKS2_PS2_Evb18rocblas_operation_iiiiT1_T2_lllS9_lllS8_T3_llli.has_recursion, 0
	.set _ZL20rocblas_gbmvt_kernelILi32ELi32E24rocblas_internal_val_ptrI19rocblas_complex_numIdEEPKS2_PS2_Evb18rocblas_operation_iiiiT1_T2_lllS9_lllS8_T3_llli.has_indirect_call, 0
	.section	.AMDGPU.csdata,"",@progbits
; Kernel info:
; codeLenInByte = 1404
; TotalNumSgprs: 52
; NumVgprs: 23
; NumAgprs: 0
; TotalNumVgprs: 23
; ScratchSize: 0
; MemoryBound: 0
; FloatMode: 240
; IeeeMode: 1
; LDSByteSize: 0 bytes/workgroup (compile time only)
; SGPRBlocks: 6
; VGPRBlocks: 2
; NumSGPRsForWavesPerEU: 52
; NumVGPRsForWavesPerEU: 23
; AccumOffset: 24
; Occupancy: 8
; WaveLimiterHint : 1
; COMPUTE_PGM_RSRC2:SCRATCH_EN: 0
; COMPUTE_PGM_RSRC2:USER_SGPR: 2
; COMPUTE_PGM_RSRC2:TRAP_HANDLER: 0
; COMPUTE_PGM_RSRC2:TGID_X_EN: 1
; COMPUTE_PGM_RSRC2:TGID_Y_EN: 0
; COMPUTE_PGM_RSRC2:TGID_Z_EN: 1
; COMPUTE_PGM_RSRC2:TIDIG_COMP_CNT: 1
; COMPUTE_PGM_RSRC3_GFX90A:ACCUM_OFFSET: 5
; COMPUTE_PGM_RSRC3_GFX90A:TG_SPLIT: 0
	.section	.text._ZL20rocblas_gbmvt_kernelILi64ELi16E24rocblas_internal_val_ptrI19rocblas_complex_numIdEEPKS2_PS2_Evb18rocblas_operation_iiiiT1_T2_lllS9_lllS8_T3_llli,"axG",@progbits,_ZL20rocblas_gbmvt_kernelILi64ELi16E24rocblas_internal_val_ptrI19rocblas_complex_numIdEEPKS2_PS2_Evb18rocblas_operation_iiiiT1_T2_lllS9_lllS8_T3_llli,comdat
	.globl	_ZL20rocblas_gbmvt_kernelILi64ELi16E24rocblas_internal_val_ptrI19rocblas_complex_numIdEEPKS2_PS2_Evb18rocblas_operation_iiiiT1_T2_lllS9_lllS8_T3_llli ; -- Begin function _ZL20rocblas_gbmvt_kernelILi64ELi16E24rocblas_internal_val_ptrI19rocblas_complex_numIdEEPKS2_PS2_Evb18rocblas_operation_iiiiT1_T2_lllS9_lllS8_T3_llli
	.p2align	8
	.type	_ZL20rocblas_gbmvt_kernelILi64ELi16E24rocblas_internal_val_ptrI19rocblas_complex_numIdEEPKS2_PS2_Evb18rocblas_operation_iiiiT1_T2_lllS9_lllS8_T3_llli,@function
_ZL20rocblas_gbmvt_kernelILi64ELi16E24rocblas_internal_val_ptrI19rocblas_complex_numIdEEPKS2_PS2_Evb18rocblas_operation_iiiiT1_T2_lllS9_lllS8_T3_llli: ; @_ZL20rocblas_gbmvt_kernelILi64ELi16E24rocblas_internal_val_ptrI19rocblas_complex_numIdEEPKS2_PS2_Evb18rocblas_operation_iiiiT1_T2_lllS9_lllS8_T3_llli
; %bb.0:
	s_load_dwordx4 s[40:43], s[0:1], 0x0
	s_load_dwordx2 s[6:7], s[0:1], 0x18
	s_load_dwordx4 s[24:27], s[0:1], 0x88
	s_load_dwordx8 s[16:23], s[0:1], 0x68
	s_mov_b64 s[8:9], -1
                                        ; implicit-def: $sgpr38_sgpr39
	s_waitcnt lgkmcnt(0)
	s_bitcmp1_b32 s40, 0
	s_cselect_b64 s[4:5], -1, 0
	s_xor_b64 s[4:5], s[4:5], -1
	s_and_b64 vcc, exec, s[4:5]
	s_cbranch_vccnz .LBB27_4
; %bb.1:
	s_andn2_b64 vcc, exec, s[8:9]
	s_cbranch_vccz .LBB27_5
.LBB27_2:
	s_and_b64 vcc, exec, s[4:5]
	s_cbranch_vccz .LBB27_6
.LBB27_3:
	s_load_dwordx4 s[28:31], s[16:17], 0x0
	s_cbranch_execz .LBB27_7
	s_branch .LBB27_8
.LBB27_4:
	s_load_dwordx4 s[36:39], s[6:7], 0x0
	s_cbranch_execnz .LBB27_2
.LBB27_5:
	s_waitcnt lgkmcnt(0)
	s_load_dwordx2 s[38:39], s[0:1], 0x20
	s_mov_b64 s[36:37], s[6:7]
	s_and_b64 vcc, exec, s[4:5]
	s_cbranch_vccnz .LBB27_3
.LBB27_6:
                                        ; implicit-def: $sgpr30_sgpr31
.LBB27_7:
	s_waitcnt lgkmcnt(0)
	s_mov_b64 s[28:29], s[16:17]
	s_mov_b64 s[30:31], s[18:19]
.LBB27_8:
	s_waitcnt lgkmcnt(0)
	v_cmp_neq_f64_e64 s[4:5], s[36:37], 0
	v_cmp_neq_f64_e64 s[6:7], s[38:39], 0
	s_or_b64 s[4:5], s[4:5], s[6:7]
	s_mov_b64 s[6:7], -1
	s_and_b64 vcc, exec, s[4:5]
	s_cbranch_vccnz .LBB27_10
; %bb.9:
	v_cmp_neq_f64_e64 s[6:7], s[28:29], 1.0
	v_cmp_neq_f64_e64 s[8:9], s[30:31], 0
	s_or_b64 s[6:7], s[6:7], s[8:9]
.LBB27_10:
	s_andn2_b64 vcc, exec, s[6:7]
	s_cbranch_vccnz .LBB27_28
; %bb.11:
	s_load_dwordx2 s[34:35], s[0:1], 0x10
	v_bfe_u32 v1, v0, 10, 10
	v_lshl_add_u32 v8, s2, 4, v1
	v_cmp_gt_i32_e32 vcc, s43, v8
	s_and_saveexec_b64 s[6:7], vcc
	s_cbranch_execz .LBB27_28
; %bb.12:
	s_xor_b64 s[4:5], s[4:5], -1
	s_andn2_b64 vcc, exec, s[4:5]
	s_cbranch_vccnz .LBB27_14
; %bb.13:
	v_and_b32_e32 v9, 0x3ff, v0
	v_mov_b64_e32 v[4:5], 0
	v_mov_b64_e32 v[2:3], 0
	s_cbranch_execz .LBB27_15
	s_branch .LBB27_24
.LBB27_14:
                                        ; implicit-def: $vgpr9
	v_mov_b64_e32 v[4:5], 0
	v_mov_b64_e32 v[2:3], 0
.LBB27_15:
	v_and_b32_e32 v9, 0x3ff, v0
	s_waitcnt lgkmcnt(0)
	s_add_i32 s2, s35, s34
	v_cmp_ge_i32_e32 vcc, s2, v9
	v_mov_b64_e32 v[0:1], 0
	v_mov_b64_e32 v[4:5], 0
	s_and_saveexec_b64 s[44:45], vcc
	s_cbranch_execz .LBB27_23
; %bb.16:
	s_load_dwordx16 s[4:19], s[0:1], 0x28
	s_cmpk_eq_i32 s41, 0x71
	s_cselect_b64 vcc, -1, 0
	v_ashrrev_i32_e32 v4, 31, v8
	v_sub_u32_e32 v10, s35, v9
	s_waitcnt lgkmcnt(0)
	v_mad_u64_u32 v[0:1], s[0:1], s8, v8, 0
	s_mul_i32 s0, s11, s3
	s_mul_hi_u32 s1, s10, s3
	s_add_i32 s1, s1, s0
	s_mul_i32 s0, s10, s3
	s_lshl_b64 s[0:1], s[0:1], 4
	s_lshl_b64 s[6:7], s[6:7], 4
	v_mul_lo_u32 v2, s9, v8
	v_mul_lo_u32 v3, s8, v4
	s_add_u32 s0, s6, s0
	v_add3_u32 v1, v1, v3, v2
	s_addc_u32 s1, s7, s1
	v_lshl_add_u64 v[0:1], v[0:1], 4, s[0:1]
	v_lshlrev_b32_e32 v2, 4, v9
	v_mov_b32_e32 v3, 0
	v_lshl_add_u64 v[0:1], v[0:1], 0, v[2:3]
	v_lshl_add_u64 v[0:1], s[4:5], 0, v[0:1]
	;; [unrolled: 1-line block ×3, first 2 shown]
	v_ashrrev_i32_e32 v0, 31, v10
	v_sub_co_u32_e64 v1, s[0:1], v8, v10
	s_lshl_b64 s[4:5], s[14:15], 4
	s_nop 0
	v_subb_co_u32_e64 v0, s[0:1], v4, v0, s[0:1]
	v_mul_lo_u32 v4, s17, v1
	v_mul_lo_u32 v5, s16, v0
	v_mad_u64_u32 v[0:1], s[0:1], s16, v1, 0
	s_mul_i32 s0, s19, s3
	s_mul_hi_u32 s1, s18, s3
	s_add_i32 s1, s1, s0
	s_mul_i32 s0, s18, s3
	s_lshl_b64 s[0:1], s[0:1], 4
	s_add_u32 s4, s12, s4
	s_addc_u32 s5, s13, s5
	s_add_u32 s0, s4, s0
	v_add3_u32 v1, v1, v5, v4
	s_addc_u32 s1, s5, s1
	v_lshl_add_u64 v[0:1], v[0:1], 4, s[0:1]
	v_lshl_add_u64 v[6:7], v[0:1], 0, 8
	s_lshl_b64 s[6:7], s[16:17], 10
	v_mov_b64_e32 v[0:1], 0
	s_mov_b64 s[8:9], 0
	s_mov_b64 s[10:11], 0x400
	v_mov_b32_e32 v11, v9
	v_mov_b64_e32 v[4:5], 0
	s_branch .LBB27_19
.LBB27_17:                              ;   in Loop: Header=BB27_19 Depth=1
	s_or_b64 exec, exec, s[0:1]
.LBB27_18:                              ;   in Loop: Header=BB27_19 Depth=1
	s_or_b64 exec, exec, s[12:13]
	v_add_u32_e32 v11, 64, v11
	v_cmp_lt_i32_e64 s[0:1], s2, v11
	v_subrev_u32_e32 v10, 64, v10
	v_lshl_add_u64 v[2:3], v[2:3], 0, s[10:11]
	s_or_b64 s[8:9], s[0:1], s[8:9]
	v_lshl_add_u64 v[6:7], v[6:7], 0, s[6:7]
	s_andn2_b64 exec, exec, s[8:9]
	s_cbranch_execz .LBB27_22
.LBB27_19:                              ; =>This Inner Loop Header: Depth=1
	v_add_u32_e32 v12, s42, v10
	v_cmp_lt_i32_e64 s[0:1], v8, v12
	s_and_saveexec_b64 s[12:13], s[0:1]
	s_cbranch_execz .LBB27_18
; %bb.20:                               ;   in Loop: Header=BB27_19 Depth=1
	v_cmp_lt_i32_e64 s[0:1], s35, v11
	v_cmp_ge_i32_e64 s[4:5], v8, v10
	s_or_b64 s[4:5], s[0:1], s[4:5]
	s_and_saveexec_b64 s[0:1], s[4:5]
	s_cbranch_execz .LBB27_17
; %bb.21:                               ;   in Loop: Header=BB27_19 Depth=1
	global_load_dwordx4 v[12:15], v[2:3], off offset:-8
	global_load_dwordx4 v[16:19], v[6:7], off offset:-8
	s_waitcnt vmcnt(1)
	v_xor_b32_e32 v22, 0x80000000, v15
	v_cndmask_b32_e32 v15, v15, v22, vcc
	s_waitcnt vmcnt(0)
	v_mul_f64 v[20:21], v[12:13], v[18:19]
	v_mul_f64 v[18:19], v[14:15], v[18:19]
	v_fmac_f64_e32 v[20:21], v[14:15], v[16:17]
	v_fma_f64 v[12:13], v[12:13], v[16:17], -v[18:19]
	v_add_f64 v[4:5], v[4:5], v[12:13]
	v_add_f64 v[0:1], v[0:1], v[20:21]
	s_branch .LBB27_17
.LBB27_22:
	s_or_b64 exec, exec, s[8:9]
.LBB27_23:
	s_or_b64 exec, exec, s[44:45]
	v_mbcnt_lo_u32_b32 v2, -1, 0
	v_mbcnt_hi_u32_b32 v10, -1, v2
	v_mov_b32_e32 v2, 0x80
	v_lshl_or_b32 v7, v10, 2, v2
	ds_bpermute_b32 v2, v7, v4
	ds_bpermute_b32 v3, v7, v5
	;; [unrolled: 1-line block ×4, first 2 shown]
	v_and_b32_e32 v11, 63, v10
	v_cmp_gt_u32_e32 vcc, 48, v11
	s_waitcnt lgkmcnt(2)
	v_add_f64 v[2:3], v[4:5], v[2:3]
	s_waitcnt lgkmcnt(0)
	v_cndmask_b32_e64 v4, 0, 16, vcc
	v_add_f64 v[0:1], v[0:1], v[6:7]
	v_add_lshl_u32 v7, v4, v10, 2
	ds_bpermute_b32 v4, v7, v2
	ds_bpermute_b32 v5, v7, v3
	;; [unrolled: 1-line block ×4, first 2 shown]
	v_cmp_gt_u32_e32 vcc, 56, v11
	s_barrier
	s_waitcnt lgkmcnt(2)
	v_add_f64 v[2:3], v[2:3], v[4:5]
	v_cndmask_b32_e64 v4, 0, 8, vcc
	s_waitcnt lgkmcnt(0)
	v_add_f64 v[0:1], v[0:1], v[6:7]
	v_add_lshl_u32 v7, v4, v10, 2
	ds_bpermute_b32 v4, v7, v2
	ds_bpermute_b32 v5, v7, v3
	;; [unrolled: 1-line block ×4, first 2 shown]
	v_cmp_gt_u32_e32 vcc, 60, v11
	s_waitcnt lgkmcnt(0)
	v_add_f64 v[2:3], v[2:3], v[4:5]
	v_cndmask_b32_e64 v4, 0, 4, vcc
	v_add_f64 v[0:1], v[0:1], v[6:7]
	v_add_lshl_u32 v7, v4, v10, 2
	ds_bpermute_b32 v4, v7, v2
	ds_bpermute_b32 v5, v7, v3
	;; [unrolled: 1-line block ×4, first 2 shown]
	v_cmp_gt_u32_e32 vcc, 62, v11
	s_waitcnt lgkmcnt(2)
	v_add_f64 v[2:3], v[2:3], v[4:5]
	v_cndmask_b32_e64 v4, 0, 2, vcc
	s_waitcnt lgkmcnt(0)
	v_add_f64 v[0:1], v[0:1], v[6:7]
	v_add_lshl_u32 v7, v4, v10, 2
	ds_bpermute_b32 v4, v7, v2
	ds_bpermute_b32 v5, v7, v3
	;; [unrolled: 1-line block ×4, first 2 shown]
	v_cmp_ne_u32_e32 vcc, 63, v11
	s_waitcnt lgkmcnt(2)
	v_add_f64 v[2:3], v[2:3], v[4:5]
	v_addc_co_u32_e32 v4, vcc, 0, v10, vcc
	s_waitcnt lgkmcnt(0)
	v_add_f64 v[0:1], v[0:1], v[6:7]
	v_lshlrev_b32_e32 v7, 2, v4
	ds_bpermute_b32 v4, v7, v2
	ds_bpermute_b32 v5, v7, v3
	;; [unrolled: 1-line block ×4, first 2 shown]
	s_waitcnt lgkmcnt(2)
	v_add_f64 v[10:11], v[2:3], v[4:5]
	s_waitcnt lgkmcnt(0)
	v_add_f64 v[0:1], v[0:1], v[6:7]
	v_mul_f64 v[2:3], s[38:39], v[0:1]
	v_mul_f64 v[4:5], s[36:37], v[0:1]
	v_fma_f64 v[2:3], s[36:37], v[10:11], -v[2:3]
	v_fmac_f64_e32 v[4:5], s[38:39], v[10:11]
.LBB27_24:
	v_cmp_eq_u32_e32 vcc, 0, v9
	s_and_b64 exec, exec, vcc
	s_cbranch_execz .LBB27_28
; %bb.25:
	s_mul_i32 s0, s27, s3
	s_mul_hi_u32 s1, s26, s3
	s_add_i32 s1, s1, s0
	s_mul_i32 s0, s26, s3
	s_lshl_b64 s[0:1], s[0:1], 4
	s_add_u32 s2, s20, s0
	s_addc_u32 s3, s21, s1
	s_lshl_b64 s[0:1], s[22:23], 4
	s_add_u32 s0, s2, s0
	v_ashrrev_i32_e32 v0, 31, v8
	s_addc_u32 s1, s3, s1
	v_cmp_neq_f64_e64 s[2:3], s[28:29], 0
	v_cmp_neq_f64_e64 s[4:5], s[30:31], 0
	v_mul_lo_u32 v6, s25, v8
	v_mul_lo_u32 v7, s24, v0
	v_mad_u64_u32 v[0:1], s[6:7], s24, v8, 0
	v_add3_u32 v1, v1, v7, v6
	s_or_b64 s[2:3], s[2:3], s[4:5]
	s_andn2_b64 vcc, exec, s[2:3]
	v_lshl_add_u64 v[0:1], v[0:1], 4, s[0:1]
	s_cbranch_vccnz .LBB27_27
; %bb.26:
	global_load_dwordx4 v[6:9], v[0:1], off
	s_waitcnt vmcnt(0)
	v_mul_f64 v[10:11], s[30:31], v[8:9]
	v_mul_f64 v[8:9], s[28:29], v[8:9]
	v_fma_f64 v[10:11], s[28:29], v[6:7], -v[10:11]
	v_fmac_f64_e32 v[8:9], s[30:31], v[6:7]
	v_add_f64 v[2:3], v[2:3], v[10:11]
	v_add_f64 v[4:5], v[4:5], v[8:9]
.LBB27_27:
	global_store_dwordx4 v[0:1], v[2:5], off
.LBB27_28:
	s_endpgm
	.section	.rodata,"a",@progbits
	.p2align	6, 0x0
	.amdhsa_kernel _ZL20rocblas_gbmvt_kernelILi64ELi16E24rocblas_internal_val_ptrI19rocblas_complex_numIdEEPKS2_PS2_Evb18rocblas_operation_iiiiT1_T2_lllS9_lllS8_T3_llli
		.amdhsa_group_segment_fixed_size 0
		.amdhsa_private_segment_fixed_size 0
		.amdhsa_kernarg_size 156
		.amdhsa_user_sgpr_count 2
		.amdhsa_user_sgpr_dispatch_ptr 0
		.amdhsa_user_sgpr_queue_ptr 0
		.amdhsa_user_sgpr_kernarg_segment_ptr 1
		.amdhsa_user_sgpr_dispatch_id 0
		.amdhsa_user_sgpr_kernarg_preload_length 0
		.amdhsa_user_sgpr_kernarg_preload_offset 0
		.amdhsa_user_sgpr_private_segment_size 0
		.amdhsa_uses_dynamic_stack 0
		.amdhsa_enable_private_segment 0
		.amdhsa_system_sgpr_workgroup_id_x 1
		.amdhsa_system_sgpr_workgroup_id_y 0
		.amdhsa_system_sgpr_workgroup_id_z 1
		.amdhsa_system_sgpr_workgroup_info 0
		.amdhsa_system_vgpr_workitem_id 1
		.amdhsa_next_free_vgpr 23
		.amdhsa_next_free_sgpr 46
		.amdhsa_accum_offset 24
		.amdhsa_reserve_vcc 1
		.amdhsa_float_round_mode_32 0
		.amdhsa_float_round_mode_16_64 0
		.amdhsa_float_denorm_mode_32 3
		.amdhsa_float_denorm_mode_16_64 3
		.amdhsa_dx10_clamp 1
		.amdhsa_ieee_mode 1
		.amdhsa_fp16_overflow 0
		.amdhsa_tg_split 0
		.amdhsa_exception_fp_ieee_invalid_op 0
		.amdhsa_exception_fp_denorm_src 0
		.amdhsa_exception_fp_ieee_div_zero 0
		.amdhsa_exception_fp_ieee_overflow 0
		.amdhsa_exception_fp_ieee_underflow 0
		.amdhsa_exception_fp_ieee_inexact 0
		.amdhsa_exception_int_div_zero 0
	.end_amdhsa_kernel
	.section	.text._ZL20rocblas_gbmvt_kernelILi64ELi16E24rocblas_internal_val_ptrI19rocblas_complex_numIdEEPKS2_PS2_Evb18rocblas_operation_iiiiT1_T2_lllS9_lllS8_T3_llli,"axG",@progbits,_ZL20rocblas_gbmvt_kernelILi64ELi16E24rocblas_internal_val_ptrI19rocblas_complex_numIdEEPKS2_PS2_Evb18rocblas_operation_iiiiT1_T2_lllS9_lllS8_T3_llli,comdat
.Lfunc_end27:
	.size	_ZL20rocblas_gbmvt_kernelILi64ELi16E24rocblas_internal_val_ptrI19rocblas_complex_numIdEEPKS2_PS2_Evb18rocblas_operation_iiiiT1_T2_lllS9_lllS8_T3_llli, .Lfunc_end27-_ZL20rocblas_gbmvt_kernelILi64ELi16E24rocblas_internal_val_ptrI19rocblas_complex_numIdEEPKS2_PS2_Evb18rocblas_operation_iiiiT1_T2_lllS9_lllS8_T3_llli
                                        ; -- End function
	.set _ZL20rocblas_gbmvt_kernelILi64ELi16E24rocblas_internal_val_ptrI19rocblas_complex_numIdEEPKS2_PS2_Evb18rocblas_operation_iiiiT1_T2_lllS9_lllS8_T3_llli.num_vgpr, 23
	.set _ZL20rocblas_gbmvt_kernelILi64ELi16E24rocblas_internal_val_ptrI19rocblas_complex_numIdEEPKS2_PS2_Evb18rocblas_operation_iiiiT1_T2_lllS9_lllS8_T3_llli.num_agpr, 0
	.set _ZL20rocblas_gbmvt_kernelILi64ELi16E24rocblas_internal_val_ptrI19rocblas_complex_numIdEEPKS2_PS2_Evb18rocblas_operation_iiiiT1_T2_lllS9_lllS8_T3_llli.numbered_sgpr, 46
	.set _ZL20rocblas_gbmvt_kernelILi64ELi16E24rocblas_internal_val_ptrI19rocblas_complex_numIdEEPKS2_PS2_Evb18rocblas_operation_iiiiT1_T2_lllS9_lllS8_T3_llli.num_named_barrier, 0
	.set _ZL20rocblas_gbmvt_kernelILi64ELi16E24rocblas_internal_val_ptrI19rocblas_complex_numIdEEPKS2_PS2_Evb18rocblas_operation_iiiiT1_T2_lllS9_lllS8_T3_llli.private_seg_size, 0
	.set _ZL20rocblas_gbmvt_kernelILi64ELi16E24rocblas_internal_val_ptrI19rocblas_complex_numIdEEPKS2_PS2_Evb18rocblas_operation_iiiiT1_T2_lllS9_lllS8_T3_llli.uses_vcc, 1
	.set _ZL20rocblas_gbmvt_kernelILi64ELi16E24rocblas_internal_val_ptrI19rocblas_complex_numIdEEPKS2_PS2_Evb18rocblas_operation_iiiiT1_T2_lllS9_lllS8_T3_llli.uses_flat_scratch, 0
	.set _ZL20rocblas_gbmvt_kernelILi64ELi16E24rocblas_internal_val_ptrI19rocblas_complex_numIdEEPKS2_PS2_Evb18rocblas_operation_iiiiT1_T2_lllS9_lllS8_T3_llli.has_dyn_sized_stack, 0
	.set _ZL20rocblas_gbmvt_kernelILi64ELi16E24rocblas_internal_val_ptrI19rocblas_complex_numIdEEPKS2_PS2_Evb18rocblas_operation_iiiiT1_T2_lllS9_lllS8_T3_llli.has_recursion, 0
	.set _ZL20rocblas_gbmvt_kernelILi64ELi16E24rocblas_internal_val_ptrI19rocblas_complex_numIdEEPKS2_PS2_Evb18rocblas_operation_iiiiT1_T2_lllS9_lllS8_T3_llli.has_indirect_call, 0
	.section	.AMDGPU.csdata,"",@progbits
; Kernel info:
; codeLenInByte = 1472
; TotalNumSgprs: 52
; NumVgprs: 23
; NumAgprs: 0
; TotalNumVgprs: 23
; ScratchSize: 0
; MemoryBound: 0
; FloatMode: 240
; IeeeMode: 1
; LDSByteSize: 0 bytes/workgroup (compile time only)
; SGPRBlocks: 6
; VGPRBlocks: 2
; NumSGPRsForWavesPerEU: 52
; NumVGPRsForWavesPerEU: 23
; AccumOffset: 24
; Occupancy: 8
; WaveLimiterHint : 1
; COMPUTE_PGM_RSRC2:SCRATCH_EN: 0
; COMPUTE_PGM_RSRC2:USER_SGPR: 2
; COMPUTE_PGM_RSRC2:TRAP_HANDLER: 0
; COMPUTE_PGM_RSRC2:TGID_X_EN: 1
; COMPUTE_PGM_RSRC2:TGID_Y_EN: 0
; COMPUTE_PGM_RSRC2:TGID_Z_EN: 1
; COMPUTE_PGM_RSRC2:TIDIG_COMP_CNT: 1
; COMPUTE_PGM_RSRC3_GFX90A:ACCUM_OFFSET: 5
; COMPUTE_PGM_RSRC3_GFX90A:TG_SPLIT: 0
	.section	.text._ZL20rocblas_gbmvn_kernelILi32ELi32E24rocblas_internal_val_ptrIfEPKPKfPKPfEvbiiiiT1_T2_lllSA_lllS9_T3_llli,"axG",@progbits,_ZL20rocblas_gbmvn_kernelILi32ELi32E24rocblas_internal_val_ptrIfEPKPKfPKPfEvbiiiiT1_T2_lllSA_lllS9_T3_llli,comdat
	.globl	_ZL20rocblas_gbmvn_kernelILi32ELi32E24rocblas_internal_val_ptrIfEPKPKfPKPfEvbiiiiT1_T2_lllSA_lllS9_T3_llli ; -- Begin function _ZL20rocblas_gbmvn_kernelILi32ELi32E24rocblas_internal_val_ptrIfEPKPKfPKPfEvbiiiiT1_T2_lllSA_lllS9_T3_llli
	.p2align	8
	.type	_ZL20rocblas_gbmvn_kernelILi32ELi32E24rocblas_internal_val_ptrIfEPKPKfPKPfEvbiiiiT1_T2_lllSA_lllS9_T3_llli,@function
_ZL20rocblas_gbmvn_kernelILi32ELi32E24rocblas_internal_val_ptrIfEPKPKfPKPfEvbiiiiT1_T2_lllSA_lllS9_T3_llli: ; @_ZL20rocblas_gbmvn_kernelILi32ELi32E24rocblas_internal_val_ptrIfEPKPKfPKPfEvbiiiiT1_T2_lllSA_lllS9_T3_llli
; %bb.0:
	s_load_dwordx4 s[20:23], s[0:1], 0x0
	s_load_dwordx8 s[12:19], s[0:1], 0x18
	s_mov_b32 s24, s3
	s_mov_b64 s[28:29], -1
	s_waitcnt lgkmcnt(0)
	s_bitcmp1_b32 s20, 0
	s_cselect_b64 s[4:5], -1, 0
	s_xor_b64 s[26:27], s[4:5], -1
	s_and_b64 vcc, exec, s[26:27]
                                        ; implicit-def: $sgpr20
	s_cbranch_vccnz .LBB28_7
; %bb.1:
	s_load_dwordx8 s[4:11], s[0:1], 0x60
	s_andn2_b64 vcc, exec, s[28:29]
	s_cbranch_vccz .LBB28_8
.LBB28_2:
	s_andn2_b64 vcc, exec, s[26:27]
	s_cbranch_vccnz .LBB28_4
.LBB28_3:
	s_waitcnt lgkmcnt(0)
	s_load_dword s4, s[4:5], 0x0
.LBB28_4:
	s_waitcnt lgkmcnt(0)
	v_cmp_eq_f32_e64 s[30:31], s20, 0
	v_cmp_eq_f32_e64 s[12:13], s4, 1.0
	s_and_b64 s[12:13], s[30:31], s[12:13]
	s_and_b64 vcc, exec, s[12:13]
	s_cbranch_vccnz .LBB28_29
; %bb.5:
	v_cmp_neq_f32_e64 s[34:35], s20, 0
	s_mov_b32 s25, 0
	s_and_b64 vcc, exec, s[34:35]
	s_cbranch_vccnz .LBB28_9
; %bb.6:
	s_mov_b64 s[12:13], 0
	s_branch .LBB28_10
.LBB28_7:
	s_load_dword s20, s[12:13], 0x0
	s_load_dwordx8 s[4:11], s[0:1], 0x60
	s_cbranch_execnz .LBB28_2
.LBB28_8:
	s_waitcnt lgkmcnt(0)
	s_mov_b32 s20, s12
	s_andn2_b64 vcc, exec, s[26:27]
	s_cbranch_vccz .LBB28_3
	s_branch .LBB28_4
.LBB28_9:
	s_mov_b64 s[12:13], -1
.LBB28_10:
	s_load_dword s5, s[0:1], 0x10
	s_mov_b64 s[28:29], 0
	s_andn2_b64 vcc, exec, s[12:13]
	s_mov_b64 s[26:27], 0
	s_cbranch_vccnz .LBB28_12
; %bb.11:
	s_lshl_b64 s[12:13], s[24:25], 3
	s_add_u32 s12, s14, s12
	s_addc_u32 s13, s15, s13
	s_load_dwordx2 s[12:13], s[12:13], 0x0
	s_lshl_b64 s[14:15], s[16:17], 2
	s_waitcnt lgkmcnt(0)
	s_add_u32 s26, s12, s14
	s_addc_u32 s27, s13, s15
.LBB28_12:
	s_load_dwordx4 s[12:15], s[0:1], 0x40
	s_load_dwordx2 s[16:17], s[0:1], 0x50
	s_andn2_b64 vcc, exec, s[34:35]
	s_cbranch_vccnz .LBB28_14
; %bb.13:
	s_lshl_b64 s[0:1], s[24:25], 3
	s_waitcnt lgkmcnt(0)
	s_add_u32 s0, s12, s0
	s_addc_u32 s1, s13, s1
	s_load_dwordx2 s[0:1], s[0:1], 0x0
	s_lshl_b64 s[12:13], s[14:15], 2
	s_waitcnt lgkmcnt(0)
	s_add_u32 s28, s0, s12
	s_addc_u32 s29, s1, s13
.LBB28_14:
	v_bfe_u32 v1, v0, 10, 10
	v_lshl_add_u32 v6, s2, 5, v1
	v_cmp_gt_i32_e32 vcc, s21, v6
	s_and_saveexec_b64 s[0:1], vcc
	s_cbranch_execz .LBB28_29
; %bb.15:
	s_lshl_b64 s[0:1], s[24:25], 3
	s_add_u32 s0, s6, s0
	s_addc_u32 s1, s7, s1
	s_andn2_b64 vcc, exec, s[30:31]
	s_cbranch_vccnz .LBB28_17
; %bb.16:
	v_and_b32_e32 v7, 0x3ff, v0
	s_load_dwordx2 s[0:1], s[0:1], 0x0
	v_mov_b32_e32 v2, 0
	s_cbranch_execz .LBB28_18
	s_branch .LBB28_25
.LBB28_17:
                                        ; implicit-def: $vgpr7
	s_load_dwordx2 s[0:1], s[0:1], 0x0
	v_mov_b32_e32 v2, 0
.LBB28_18:
	v_and_b32_e32 v7, 0x3ff, v0
	v_min_i32_e32 v1, s23, v6
	s_waitcnt lgkmcnt(0)
	v_sub_u32_e32 v0, s5, v7
	v_add_u32_e32 v0, v0, v1
	v_cmp_lt_i32_e32 vcc, -1, v0
	v_mov_b32_e32 v1, 0
	s_and_saveexec_b64 s[2:3], vcc
	s_cbranch_execz .LBB28_24
; %bb.19:
	v_subrev_u32_e32 v1, s23, v6
	v_max_i32_e32 v1, 0, v1
	v_add_u32_e32 v8, v1, v7
	v_ashrrev_i32_e32 v1, 31, v8
	v_mul_lo_u32 v4, s16, v1
	v_mul_lo_u32 v5, s17, v8
	v_mad_u64_u32 v[2:3], s[6:7], s16, v8, 0
	v_add3_u32 v3, v3, v4, v5
	v_mul_lo_u32 v1, s18, v1
	v_mul_lo_u32 v9, s19, v8
	v_mad_u64_u32 v[4:5], s[12:13], s18, v8, 0
	v_add3_u32 v5, v5, v1, v9
	v_mov_b32_e32 v1, 0
	s_lshl_b64 s[6:7], s[16:17], 7
	v_lshlrev_b64 v[10:11], 2, v[0:1]
	s_lshl_b64 s[12:13], s[18:19], 7
	v_lshl_add_u64 v[4:5], v[4:5], 2, v[10:11]
	s_add_u32 s12, s12, 0xffffff80
	v_lshl_add_u64 v[2:3], v[2:3], 2, s[28:29]
	v_lshl_add_u64 v[4:5], s[26:27], 0, v[4:5]
	s_addc_u32 s13, s13, -1
	s_mov_b64 s[14:15], 0
	s_mov_b64 s[16:17], 0
	s_branch .LBB28_21
.LBB28_20:                              ;   in Loop: Header=BB28_21 Depth=1
	s_or_b64 exec, exec, s[18:19]
	s_add_u32 s16, s16, 0xffffffe0
	v_add3_u32 v9, v0, s16, 32
	s_addc_u32 s17, s17, -1
	v_cmp_gt_u32_e32 vcc, 32, v9
	v_add_u32_e32 v8, 32, v8
	v_lshl_add_u64 v[2:3], v[2:3], 0, s[6:7]
	s_or_b64 s[14:15], vcc, s[14:15]
	v_lshl_add_u64 v[4:5], v[4:5], 0, s[12:13]
	s_andn2_b64 exec, exec, s[14:15]
	s_cbranch_execz .LBB28_23
.LBB28_21:                              ; =>This Inner Loop Header: Depth=1
	v_cmp_gt_i32_e32 vcc, s22, v8
	s_and_saveexec_b64 s[18:19], vcc
	s_cbranch_execz .LBB28_20
; %bb.22:                               ;   in Loop: Header=BB28_21 Depth=1
	flat_load_dword v9, v[4:5]
	flat_load_dword v10, v[2:3]
	s_waitcnt vmcnt(0) lgkmcnt(0)
	v_fmac_f32_e32 v1, v9, v10
	s_branch .LBB28_20
.LBB28_23:
	s_or_b64 exec, exec, s[14:15]
.LBB28_24:
	s_or_b64 exec, exec, s[2:3]
	v_mbcnt_lo_u32_b32 v0, -1, 0
	v_mbcnt_hi_u32_b32 v0, -1, v0
	v_and_b32_e32 v2, 63, v0
	v_cmp_gt_u32_e32 vcc, 48, v2
	s_barrier
	s_nop 0
	v_cndmask_b32_e64 v3, 0, 16, vcc
	v_add_lshl_u32 v3, v3, v0, 2
	ds_bpermute_b32 v3, v3, v1
	v_cmp_gt_u32_e32 vcc, 56, v2
	s_waitcnt lgkmcnt(0)
	v_add_f32_e32 v1, v1, v3
	v_cndmask_b32_e64 v4, 0, 8, vcc
	v_add_lshl_u32 v4, v4, v0, 2
	ds_bpermute_b32 v3, v4, v1
	v_cmp_gt_u32_e32 vcc, 60, v2
	s_waitcnt lgkmcnt(0)
	v_add_f32_e32 v1, v1, v3
	;; [unrolled: 6-line block ×3, first 2 shown]
	v_cndmask_b32_e64 v4, 0, 2, vcc
	v_add_lshl_u32 v4, v4, v0, 2
	ds_bpermute_b32 v3, v4, v1
	v_cmp_ne_u32_e32 vcc, 63, v2
	s_waitcnt lgkmcnt(0)
	v_add_f32_e32 v1, v1, v3
	v_addc_co_u32_e32 v0, vcc, 0, v0, vcc
	v_lshlrev_b32_e32 v0, 2, v0
	ds_bpermute_b32 v0, v0, v1
	s_waitcnt lgkmcnt(0)
	v_add_f32_e32 v0, v1, v0
	v_mul_f32_e32 v2, s20, v0
.LBB28_25:
	v_cmp_eq_u32_e32 vcc, 0, v7
	s_and_b64 exec, exec, vcc
	s_cbranch_execz .LBB28_29
; %bb.26:
	s_lshl_b64 s[2:3], s[8:9], 2
	v_ashrrev_i32_e32 v0, 31, v6
	s_waitcnt lgkmcnt(0)
	s_add_u32 s0, s0, s2
	v_mul_lo_u32 v3, s11, v6
	v_mul_lo_u32 v4, s10, v0
	v_mad_u64_u32 v[0:1], s[6:7], s10, v6, 0
	s_addc_u32 s1, s1, s3
	v_cmp_eq_f32_e64 s[2:3], s4, 0
	v_add3_u32 v1, v1, v4, v3
	v_lshl_add_u64 v[0:1], v[0:1], 2, s[0:1]
	s_and_b64 vcc, exec, s[2:3]
	s_cbranch_vccnz .LBB28_28
; %bb.27:
	flat_load_dword v3, v[0:1]
	s_waitcnt vmcnt(0) lgkmcnt(0)
	v_fmac_f32_e32 v2, s4, v3
.LBB28_28:
	flat_store_dword v[0:1], v2
.LBB28_29:
	s_endpgm
	.section	.rodata,"a",@progbits
	.p2align	6, 0x0
	.amdhsa_kernel _ZL20rocblas_gbmvn_kernelILi32ELi32E24rocblas_internal_val_ptrIfEPKPKfPKPfEvbiiiiT1_T2_lllSA_lllS9_T3_llli
		.amdhsa_group_segment_fixed_size 0
		.amdhsa_private_segment_fixed_size 0
		.amdhsa_kernarg_size 140
		.amdhsa_user_sgpr_count 2
		.amdhsa_user_sgpr_dispatch_ptr 0
		.amdhsa_user_sgpr_queue_ptr 0
		.amdhsa_user_sgpr_kernarg_segment_ptr 1
		.amdhsa_user_sgpr_dispatch_id 0
		.amdhsa_user_sgpr_kernarg_preload_length 0
		.amdhsa_user_sgpr_kernarg_preload_offset 0
		.amdhsa_user_sgpr_private_segment_size 0
		.amdhsa_uses_dynamic_stack 0
		.amdhsa_enable_private_segment 0
		.amdhsa_system_sgpr_workgroup_id_x 1
		.amdhsa_system_sgpr_workgroup_id_y 0
		.amdhsa_system_sgpr_workgroup_id_z 1
		.amdhsa_system_sgpr_workgroup_info 0
		.amdhsa_system_vgpr_workitem_id 1
		.amdhsa_next_free_vgpr 12
		.amdhsa_next_free_sgpr 36
		.amdhsa_accum_offset 12
		.amdhsa_reserve_vcc 1
		.amdhsa_float_round_mode_32 0
		.amdhsa_float_round_mode_16_64 0
		.amdhsa_float_denorm_mode_32 3
		.amdhsa_float_denorm_mode_16_64 3
		.amdhsa_dx10_clamp 1
		.amdhsa_ieee_mode 1
		.amdhsa_fp16_overflow 0
		.amdhsa_tg_split 0
		.amdhsa_exception_fp_ieee_invalid_op 0
		.amdhsa_exception_fp_denorm_src 0
		.amdhsa_exception_fp_ieee_div_zero 0
		.amdhsa_exception_fp_ieee_overflow 0
		.amdhsa_exception_fp_ieee_underflow 0
		.amdhsa_exception_fp_ieee_inexact 0
		.amdhsa_exception_int_div_zero 0
	.end_amdhsa_kernel
	.section	.text._ZL20rocblas_gbmvn_kernelILi32ELi32E24rocblas_internal_val_ptrIfEPKPKfPKPfEvbiiiiT1_T2_lllSA_lllS9_T3_llli,"axG",@progbits,_ZL20rocblas_gbmvn_kernelILi32ELi32E24rocblas_internal_val_ptrIfEPKPKfPKPfEvbiiiiT1_T2_lllSA_lllS9_T3_llli,comdat
.Lfunc_end28:
	.size	_ZL20rocblas_gbmvn_kernelILi32ELi32E24rocblas_internal_val_ptrIfEPKPKfPKPfEvbiiiiT1_T2_lllSA_lllS9_T3_llli, .Lfunc_end28-_ZL20rocblas_gbmvn_kernelILi32ELi32E24rocblas_internal_val_ptrIfEPKPKfPKPfEvbiiiiT1_T2_lllSA_lllS9_T3_llli
                                        ; -- End function
	.set _ZL20rocblas_gbmvn_kernelILi32ELi32E24rocblas_internal_val_ptrIfEPKPKfPKPfEvbiiiiT1_T2_lllSA_lllS9_T3_llli.num_vgpr, 12
	.set _ZL20rocblas_gbmvn_kernelILi32ELi32E24rocblas_internal_val_ptrIfEPKPKfPKPfEvbiiiiT1_T2_lllSA_lllS9_T3_llli.num_agpr, 0
	.set _ZL20rocblas_gbmvn_kernelILi32ELi32E24rocblas_internal_val_ptrIfEPKPKfPKPfEvbiiiiT1_T2_lllSA_lllS9_T3_llli.numbered_sgpr, 36
	.set _ZL20rocblas_gbmvn_kernelILi32ELi32E24rocblas_internal_val_ptrIfEPKPKfPKPfEvbiiiiT1_T2_lllSA_lllS9_T3_llli.num_named_barrier, 0
	.set _ZL20rocblas_gbmvn_kernelILi32ELi32E24rocblas_internal_val_ptrIfEPKPKfPKPfEvbiiiiT1_T2_lllSA_lllS9_T3_llli.private_seg_size, 0
	.set _ZL20rocblas_gbmvn_kernelILi32ELi32E24rocblas_internal_val_ptrIfEPKPKfPKPfEvbiiiiT1_T2_lllSA_lllS9_T3_llli.uses_vcc, 1
	.set _ZL20rocblas_gbmvn_kernelILi32ELi32E24rocblas_internal_val_ptrIfEPKPKfPKPfEvbiiiiT1_T2_lllSA_lllS9_T3_llli.uses_flat_scratch, 0
	.set _ZL20rocblas_gbmvn_kernelILi32ELi32E24rocblas_internal_val_ptrIfEPKPKfPKPfEvbiiiiT1_T2_lllSA_lllS9_T3_llli.has_dyn_sized_stack, 0
	.set _ZL20rocblas_gbmvn_kernelILi32ELi32E24rocblas_internal_val_ptrIfEPKPKfPKPfEvbiiiiT1_T2_lllSA_lllS9_T3_llli.has_recursion, 0
	.set _ZL20rocblas_gbmvn_kernelILi32ELi32E24rocblas_internal_val_ptrIfEPKPKfPKPfEvbiiiiT1_T2_lllSA_lllS9_T3_llli.has_indirect_call, 0
	.section	.AMDGPU.csdata,"",@progbits
; Kernel info:
; codeLenInByte = 1016
; TotalNumSgprs: 42
; NumVgprs: 12
; NumAgprs: 0
; TotalNumVgprs: 12
; ScratchSize: 0
; MemoryBound: 0
; FloatMode: 240
; IeeeMode: 1
; LDSByteSize: 0 bytes/workgroup (compile time only)
; SGPRBlocks: 5
; VGPRBlocks: 1
; NumSGPRsForWavesPerEU: 42
; NumVGPRsForWavesPerEU: 12
; AccumOffset: 12
; Occupancy: 8
; WaveLimiterHint : 1
; COMPUTE_PGM_RSRC2:SCRATCH_EN: 0
; COMPUTE_PGM_RSRC2:USER_SGPR: 2
; COMPUTE_PGM_RSRC2:TRAP_HANDLER: 0
; COMPUTE_PGM_RSRC2:TGID_X_EN: 1
; COMPUTE_PGM_RSRC2:TGID_Y_EN: 0
; COMPUTE_PGM_RSRC2:TGID_Z_EN: 1
; COMPUTE_PGM_RSRC2:TIDIG_COMP_CNT: 1
; COMPUTE_PGM_RSRC3_GFX90A:ACCUM_OFFSET: 2
; COMPUTE_PGM_RSRC3_GFX90A:TG_SPLIT: 0
	.section	.text._ZL20rocblas_gbmvn_kernelILi64ELi16E24rocblas_internal_val_ptrIfEPKPKfPKPfEvbiiiiT1_T2_lllSA_lllS9_T3_llli,"axG",@progbits,_ZL20rocblas_gbmvn_kernelILi64ELi16E24rocblas_internal_val_ptrIfEPKPKfPKPfEvbiiiiT1_T2_lllSA_lllS9_T3_llli,comdat
	.globl	_ZL20rocblas_gbmvn_kernelILi64ELi16E24rocblas_internal_val_ptrIfEPKPKfPKPfEvbiiiiT1_T2_lllSA_lllS9_T3_llli ; -- Begin function _ZL20rocblas_gbmvn_kernelILi64ELi16E24rocblas_internal_val_ptrIfEPKPKfPKPfEvbiiiiT1_T2_lllSA_lllS9_T3_llli
	.p2align	8
	.type	_ZL20rocblas_gbmvn_kernelILi64ELi16E24rocblas_internal_val_ptrIfEPKPKfPKPfEvbiiiiT1_T2_lllSA_lllS9_T3_llli,@function
_ZL20rocblas_gbmvn_kernelILi64ELi16E24rocblas_internal_val_ptrIfEPKPKfPKPfEvbiiiiT1_T2_lllSA_lllS9_T3_llli: ; @_ZL20rocblas_gbmvn_kernelILi64ELi16E24rocblas_internal_val_ptrIfEPKPKfPKPfEvbiiiiT1_T2_lllSA_lllS9_T3_llli
; %bb.0:
	s_load_dwordx4 s[20:23], s[0:1], 0x0
	s_load_dwordx8 s[12:19], s[0:1], 0x18
	s_mov_b32 s24, s3
	s_mov_b64 s[28:29], -1
	s_waitcnt lgkmcnt(0)
	s_bitcmp1_b32 s20, 0
	s_cselect_b64 s[4:5], -1, 0
	s_xor_b64 s[26:27], s[4:5], -1
	s_and_b64 vcc, exec, s[26:27]
                                        ; implicit-def: $sgpr20
	s_cbranch_vccnz .LBB29_7
; %bb.1:
	s_load_dwordx8 s[4:11], s[0:1], 0x60
	s_andn2_b64 vcc, exec, s[28:29]
	s_cbranch_vccz .LBB29_8
.LBB29_2:
	s_andn2_b64 vcc, exec, s[26:27]
	s_cbranch_vccnz .LBB29_4
.LBB29_3:
	s_waitcnt lgkmcnt(0)
	s_load_dword s4, s[4:5], 0x0
.LBB29_4:
	s_waitcnt lgkmcnt(0)
	v_cmp_eq_f32_e64 s[30:31], s20, 0
	v_cmp_eq_f32_e64 s[12:13], s4, 1.0
	s_and_b64 s[12:13], s[30:31], s[12:13]
	s_and_b64 vcc, exec, s[12:13]
	s_cbranch_vccnz .LBB29_29
; %bb.5:
	v_cmp_neq_f32_e64 s[34:35], s20, 0
	s_mov_b32 s25, 0
	s_and_b64 vcc, exec, s[34:35]
	s_cbranch_vccnz .LBB29_9
; %bb.6:
	s_mov_b64 s[12:13], 0
	s_branch .LBB29_10
.LBB29_7:
	s_load_dword s20, s[12:13], 0x0
	s_load_dwordx8 s[4:11], s[0:1], 0x60
	s_cbranch_execnz .LBB29_2
.LBB29_8:
	s_waitcnt lgkmcnt(0)
	s_mov_b32 s20, s12
	s_andn2_b64 vcc, exec, s[26:27]
	s_cbranch_vccz .LBB29_3
	s_branch .LBB29_4
.LBB29_9:
	s_mov_b64 s[12:13], -1
.LBB29_10:
	s_load_dword s5, s[0:1], 0x10
	s_mov_b64 s[28:29], 0
	s_andn2_b64 vcc, exec, s[12:13]
	s_mov_b64 s[26:27], 0
	s_cbranch_vccnz .LBB29_12
; %bb.11:
	s_lshl_b64 s[12:13], s[24:25], 3
	s_add_u32 s12, s14, s12
	s_addc_u32 s13, s15, s13
	s_load_dwordx2 s[12:13], s[12:13], 0x0
	s_lshl_b64 s[14:15], s[16:17], 2
	s_waitcnt lgkmcnt(0)
	s_add_u32 s26, s12, s14
	s_addc_u32 s27, s13, s15
.LBB29_12:
	s_load_dwordx4 s[12:15], s[0:1], 0x40
	s_load_dwordx2 s[16:17], s[0:1], 0x50
	s_andn2_b64 vcc, exec, s[34:35]
	s_cbranch_vccnz .LBB29_14
; %bb.13:
	s_lshl_b64 s[0:1], s[24:25], 3
	s_waitcnt lgkmcnt(0)
	s_add_u32 s0, s12, s0
	s_addc_u32 s1, s13, s1
	s_load_dwordx2 s[0:1], s[0:1], 0x0
	s_lshl_b64 s[12:13], s[14:15], 2
	s_waitcnt lgkmcnt(0)
	s_add_u32 s28, s0, s12
	s_addc_u32 s29, s1, s13
.LBB29_14:
	v_bfe_u32 v1, v0, 10, 10
	v_lshl_add_u32 v6, s2, 4, v1
	v_cmp_gt_i32_e32 vcc, s21, v6
	s_and_saveexec_b64 s[0:1], vcc
	s_cbranch_execz .LBB29_29
; %bb.15:
	s_lshl_b64 s[0:1], s[24:25], 3
	s_add_u32 s0, s6, s0
	s_addc_u32 s1, s7, s1
	s_andn2_b64 vcc, exec, s[30:31]
	s_cbranch_vccnz .LBB29_17
; %bb.16:
	v_and_b32_e32 v7, 0x3ff, v0
	s_load_dwordx2 s[0:1], s[0:1], 0x0
	v_mov_b32_e32 v2, 0
	s_cbranch_execz .LBB29_18
	s_branch .LBB29_25
.LBB29_17:
                                        ; implicit-def: $vgpr7
	s_load_dwordx2 s[0:1], s[0:1], 0x0
	v_mov_b32_e32 v2, 0
.LBB29_18:
	v_and_b32_e32 v7, 0x3ff, v0
	v_min_i32_e32 v1, s23, v6
	s_waitcnt lgkmcnt(0)
	v_sub_u32_e32 v0, s5, v7
	v_add_u32_e32 v0, v0, v1
	v_cmp_lt_i32_e32 vcc, -1, v0
	v_mov_b32_e32 v1, 0
	s_and_saveexec_b64 s[2:3], vcc
	s_cbranch_execz .LBB29_24
; %bb.19:
	v_subrev_u32_e32 v1, s23, v6
	v_max_i32_e32 v1, 0, v1
	v_add_u32_e32 v8, v1, v7
	v_ashrrev_i32_e32 v1, 31, v8
	v_mul_lo_u32 v4, s16, v1
	v_mul_lo_u32 v5, s17, v8
	v_mad_u64_u32 v[2:3], s[6:7], s16, v8, 0
	v_add3_u32 v3, v3, v4, v5
	v_mul_lo_u32 v1, s18, v1
	v_mul_lo_u32 v9, s19, v8
	v_mad_u64_u32 v[4:5], s[12:13], s18, v8, 0
	v_add3_u32 v5, v5, v1, v9
	v_mov_b32_e32 v1, 0
	s_lshl_b64 s[6:7], s[16:17], 8
	v_lshlrev_b64 v[10:11], 2, v[0:1]
	s_lshl_b64 s[12:13], s[18:19], 8
	v_lshl_add_u64 v[4:5], v[4:5], 2, v[10:11]
	s_add_u32 s12, s12, 0xffffff00
	v_lshl_add_u64 v[2:3], v[2:3], 2, s[28:29]
	v_lshl_add_u64 v[4:5], s[26:27], 0, v[4:5]
	s_addc_u32 s13, s13, -1
	s_mov_b64 s[14:15], 0
	s_mov_b64 s[16:17], 0
	s_branch .LBB29_21
.LBB29_20:                              ;   in Loop: Header=BB29_21 Depth=1
	s_or_b64 exec, exec, s[18:19]
	s_add_u32 s16, s16, 0xffffffc0
	v_add3_u32 v9, v0, s16, 64
	s_addc_u32 s17, s17, -1
	v_cmp_gt_u32_e32 vcc, 64, v9
	v_add_u32_e32 v8, 64, v8
	v_lshl_add_u64 v[2:3], v[2:3], 0, s[6:7]
	s_or_b64 s[14:15], vcc, s[14:15]
	v_lshl_add_u64 v[4:5], v[4:5], 0, s[12:13]
	s_andn2_b64 exec, exec, s[14:15]
	s_cbranch_execz .LBB29_23
.LBB29_21:                              ; =>This Inner Loop Header: Depth=1
	v_cmp_gt_i32_e32 vcc, s22, v8
	s_and_saveexec_b64 s[18:19], vcc
	s_cbranch_execz .LBB29_20
; %bb.22:                               ;   in Loop: Header=BB29_21 Depth=1
	flat_load_dword v9, v[4:5]
	flat_load_dword v10, v[2:3]
	s_waitcnt vmcnt(0) lgkmcnt(0)
	v_fmac_f32_e32 v1, v9, v10
	s_branch .LBB29_20
.LBB29_23:
	s_or_b64 exec, exec, s[14:15]
.LBB29_24:
	s_or_b64 exec, exec, s[2:3]
	v_mbcnt_lo_u32_b32 v0, -1, 0
	v_mbcnt_hi_u32_b32 v0, -1, v0
	v_mov_b32_e32 v2, 0x80
	v_lshl_or_b32 v2, v0, 2, v2
	ds_bpermute_b32 v2, v2, v1
	v_and_b32_e32 v3, 63, v0
	v_cmp_gt_u32_e32 vcc, 48, v3
	s_waitcnt lgkmcnt(0)
	s_barrier
	v_cndmask_b32_e64 v4, 0, 16, vcc
	v_add_f32_e32 v1, v1, v2
	v_add_lshl_u32 v2, v4, v0, 2
	ds_bpermute_b32 v2, v2, v1
	v_cmp_gt_u32_e32 vcc, 56, v3
	s_waitcnt lgkmcnt(0)
	v_add_f32_e32 v1, v1, v2
	v_cndmask_b32_e64 v4, 0, 8, vcc
	v_add_lshl_u32 v4, v4, v0, 2
	ds_bpermute_b32 v2, v4, v1
	v_cmp_gt_u32_e32 vcc, 60, v3
	s_waitcnt lgkmcnt(0)
	v_add_f32_e32 v1, v1, v2
	v_cndmask_b32_e64 v4, 0, 4, vcc
	;; [unrolled: 6-line block ×3, first 2 shown]
	v_add_lshl_u32 v4, v4, v0, 2
	ds_bpermute_b32 v2, v4, v1
	v_cmp_ne_u32_e32 vcc, 63, v3
	s_waitcnt lgkmcnt(0)
	v_add_f32_e32 v1, v1, v2
	v_addc_co_u32_e32 v0, vcc, 0, v0, vcc
	v_lshlrev_b32_e32 v0, 2, v0
	ds_bpermute_b32 v0, v0, v1
	s_waitcnt lgkmcnt(0)
	v_add_f32_e32 v0, v1, v0
	v_mul_f32_e32 v2, s20, v0
.LBB29_25:
	v_cmp_eq_u32_e32 vcc, 0, v7
	s_and_b64 exec, exec, vcc
	s_cbranch_execz .LBB29_29
; %bb.26:
	s_lshl_b64 s[2:3], s[8:9], 2
	v_ashrrev_i32_e32 v0, 31, v6
	s_waitcnt lgkmcnt(0)
	s_add_u32 s0, s0, s2
	v_mul_lo_u32 v3, s11, v6
	v_mul_lo_u32 v4, s10, v0
	v_mad_u64_u32 v[0:1], s[6:7], s10, v6, 0
	s_addc_u32 s1, s1, s3
	v_cmp_eq_f32_e64 s[2:3], s4, 0
	v_add3_u32 v1, v1, v4, v3
	v_lshl_add_u64 v[0:1], v[0:1], 2, s[0:1]
	s_and_b64 vcc, exec, s[2:3]
	s_cbranch_vccnz .LBB29_28
; %bb.27:
	flat_load_dword v3, v[0:1]
	s_waitcnt vmcnt(0) lgkmcnt(0)
	v_fmac_f32_e32 v2, s4, v3
.LBB29_28:
	flat_store_dword v[0:1], v2
.LBB29_29:
	s_endpgm
	.section	.rodata,"a",@progbits
	.p2align	6, 0x0
	.amdhsa_kernel _ZL20rocblas_gbmvn_kernelILi64ELi16E24rocblas_internal_val_ptrIfEPKPKfPKPfEvbiiiiT1_T2_lllSA_lllS9_T3_llli
		.amdhsa_group_segment_fixed_size 0
		.amdhsa_private_segment_fixed_size 0
		.amdhsa_kernarg_size 140
		.amdhsa_user_sgpr_count 2
		.amdhsa_user_sgpr_dispatch_ptr 0
		.amdhsa_user_sgpr_queue_ptr 0
		.amdhsa_user_sgpr_kernarg_segment_ptr 1
		.amdhsa_user_sgpr_dispatch_id 0
		.amdhsa_user_sgpr_kernarg_preload_length 0
		.amdhsa_user_sgpr_kernarg_preload_offset 0
		.amdhsa_user_sgpr_private_segment_size 0
		.amdhsa_uses_dynamic_stack 0
		.amdhsa_enable_private_segment 0
		.amdhsa_system_sgpr_workgroup_id_x 1
		.amdhsa_system_sgpr_workgroup_id_y 0
		.amdhsa_system_sgpr_workgroup_id_z 1
		.amdhsa_system_sgpr_workgroup_info 0
		.amdhsa_system_vgpr_workitem_id 1
		.amdhsa_next_free_vgpr 12
		.amdhsa_next_free_sgpr 36
		.amdhsa_accum_offset 12
		.amdhsa_reserve_vcc 1
		.amdhsa_float_round_mode_32 0
		.amdhsa_float_round_mode_16_64 0
		.amdhsa_float_denorm_mode_32 3
		.amdhsa_float_denorm_mode_16_64 3
		.amdhsa_dx10_clamp 1
		.amdhsa_ieee_mode 1
		.amdhsa_fp16_overflow 0
		.amdhsa_tg_split 0
		.amdhsa_exception_fp_ieee_invalid_op 0
		.amdhsa_exception_fp_denorm_src 0
		.amdhsa_exception_fp_ieee_div_zero 0
		.amdhsa_exception_fp_ieee_overflow 0
		.amdhsa_exception_fp_ieee_underflow 0
		.amdhsa_exception_fp_ieee_inexact 0
		.amdhsa_exception_int_div_zero 0
	.end_amdhsa_kernel
	.section	.text._ZL20rocblas_gbmvn_kernelILi64ELi16E24rocblas_internal_val_ptrIfEPKPKfPKPfEvbiiiiT1_T2_lllSA_lllS9_T3_llli,"axG",@progbits,_ZL20rocblas_gbmvn_kernelILi64ELi16E24rocblas_internal_val_ptrIfEPKPKfPKPfEvbiiiiT1_T2_lllSA_lllS9_T3_llli,comdat
.Lfunc_end29:
	.size	_ZL20rocblas_gbmvn_kernelILi64ELi16E24rocblas_internal_val_ptrIfEPKPKfPKPfEvbiiiiT1_T2_lllSA_lllS9_T3_llli, .Lfunc_end29-_ZL20rocblas_gbmvn_kernelILi64ELi16E24rocblas_internal_val_ptrIfEPKPKfPKPfEvbiiiiT1_T2_lllSA_lllS9_T3_llli
                                        ; -- End function
	.set _ZL20rocblas_gbmvn_kernelILi64ELi16E24rocblas_internal_val_ptrIfEPKPKfPKPfEvbiiiiT1_T2_lllSA_lllS9_T3_llli.num_vgpr, 12
	.set _ZL20rocblas_gbmvn_kernelILi64ELi16E24rocblas_internal_val_ptrIfEPKPKfPKPfEvbiiiiT1_T2_lllSA_lllS9_T3_llli.num_agpr, 0
	.set _ZL20rocblas_gbmvn_kernelILi64ELi16E24rocblas_internal_val_ptrIfEPKPKfPKPfEvbiiiiT1_T2_lllSA_lllS9_T3_llli.numbered_sgpr, 36
	.set _ZL20rocblas_gbmvn_kernelILi64ELi16E24rocblas_internal_val_ptrIfEPKPKfPKPfEvbiiiiT1_T2_lllSA_lllS9_T3_llli.num_named_barrier, 0
	.set _ZL20rocblas_gbmvn_kernelILi64ELi16E24rocblas_internal_val_ptrIfEPKPKfPKPfEvbiiiiT1_T2_lllSA_lllS9_T3_llli.private_seg_size, 0
	.set _ZL20rocblas_gbmvn_kernelILi64ELi16E24rocblas_internal_val_ptrIfEPKPKfPKPfEvbiiiiT1_T2_lllSA_lllS9_T3_llli.uses_vcc, 1
	.set _ZL20rocblas_gbmvn_kernelILi64ELi16E24rocblas_internal_val_ptrIfEPKPKfPKPfEvbiiiiT1_T2_lllSA_lllS9_T3_llli.uses_flat_scratch, 0
	.set _ZL20rocblas_gbmvn_kernelILi64ELi16E24rocblas_internal_val_ptrIfEPKPKfPKPfEvbiiiiT1_T2_lllSA_lllS9_T3_llli.has_dyn_sized_stack, 0
	.set _ZL20rocblas_gbmvn_kernelILi64ELi16E24rocblas_internal_val_ptrIfEPKPKfPKPfEvbiiiiT1_T2_lllSA_lllS9_T3_llli.has_recursion, 0
	.set _ZL20rocblas_gbmvn_kernelILi64ELi16E24rocblas_internal_val_ptrIfEPKPKfPKPfEvbiiiiT1_T2_lllSA_lllS9_T3_llli.has_indirect_call, 0
	.section	.AMDGPU.csdata,"",@progbits
; Kernel info:
; codeLenInByte = 1044
; TotalNumSgprs: 42
; NumVgprs: 12
; NumAgprs: 0
; TotalNumVgprs: 12
; ScratchSize: 0
; MemoryBound: 0
; FloatMode: 240
; IeeeMode: 1
; LDSByteSize: 0 bytes/workgroup (compile time only)
; SGPRBlocks: 5
; VGPRBlocks: 1
; NumSGPRsForWavesPerEU: 42
; NumVGPRsForWavesPerEU: 12
; AccumOffset: 12
; Occupancy: 8
; WaveLimiterHint : 1
; COMPUTE_PGM_RSRC2:SCRATCH_EN: 0
; COMPUTE_PGM_RSRC2:USER_SGPR: 2
; COMPUTE_PGM_RSRC2:TRAP_HANDLER: 0
; COMPUTE_PGM_RSRC2:TGID_X_EN: 1
; COMPUTE_PGM_RSRC2:TGID_Y_EN: 0
; COMPUTE_PGM_RSRC2:TGID_Z_EN: 1
; COMPUTE_PGM_RSRC2:TIDIG_COMP_CNT: 1
; COMPUTE_PGM_RSRC3_GFX90A:ACCUM_OFFSET: 2
; COMPUTE_PGM_RSRC3_GFX90A:TG_SPLIT: 0
	.section	.text._ZL20rocblas_gbmvt_kernelILi32ELi32E24rocblas_internal_val_ptrIfEPKPKfPKPfEvb18rocblas_operation_iiiiT1_T2_lllSB_lllSA_T3_llli,"axG",@progbits,_ZL20rocblas_gbmvt_kernelILi32ELi32E24rocblas_internal_val_ptrIfEPKPKfPKPfEvb18rocblas_operation_iiiiT1_T2_lllSB_lllSA_T3_llli,comdat
	.globl	_ZL20rocblas_gbmvt_kernelILi32ELi32E24rocblas_internal_val_ptrIfEPKPKfPKPfEvb18rocblas_operation_iiiiT1_T2_lllSB_lllSA_T3_llli ; -- Begin function _ZL20rocblas_gbmvt_kernelILi32ELi32E24rocblas_internal_val_ptrIfEPKPKfPKPfEvb18rocblas_operation_iiiiT1_T2_lllSB_lllSA_T3_llli
	.p2align	8
	.type	_ZL20rocblas_gbmvt_kernelILi32ELi32E24rocblas_internal_val_ptrIfEPKPKfPKPfEvb18rocblas_operation_iiiiT1_T2_lllSB_lllSA_T3_llli,@function
_ZL20rocblas_gbmvt_kernelILi32ELi32E24rocblas_internal_val_ptrIfEPKPKfPKPfEvb18rocblas_operation_iiiiT1_T2_lllSB_lllSA_T3_llli: ; @_ZL20rocblas_gbmvt_kernelILi32ELi32E24rocblas_internal_val_ptrIfEPKPKfPKPfEvb18rocblas_operation_iiiiT1_T2_lllSB_lllSA_T3_llli
; %bb.0:
	s_mov_b32 s6, s3
	s_load_dword s3, s[0:1], 0x0
	s_load_dwordx8 s[16:23], s[0:1], 0x18
	s_mov_b64 s[24:25], -1
                                        ; implicit-def: $sgpr30
	s_waitcnt lgkmcnt(0)
	s_bitcmp1_b32 s3, 0
	s_cselect_b64 s[4:5], -1, 0
	s_xor_b64 s[4:5], s[4:5], -1
	s_and_b64 vcc, exec, s[4:5]
	s_cbranch_vccnz .LBB30_7
; %bb.1:
	s_load_dwordx8 s[8:15], s[0:1], 0x60
	s_andn2_b64 vcc, exec, s[24:25]
	s_cbranch_vccz .LBB30_8
.LBB30_2:
	s_andn2_b64 vcc, exec, s[4:5]
	s_cbranch_vccnz .LBB30_4
.LBB30_3:
	s_waitcnt lgkmcnt(0)
	s_load_dword s8, s[8:9], 0x0
.LBB30_4:
	s_waitcnt lgkmcnt(0)
	v_cmp_eq_f32_e64 s[4:5], s30, 0
	v_cmp_eq_f32_e64 s[16:17], s8, 1.0
	s_and_b64 s[4:5], s[4:5], s[16:17]
	s_and_b64 vcc, exec, s[4:5]
	s_cbranch_vccnz .LBB30_23
; %bb.5:
	v_cmp_neq_f32_e64 s[28:29], s30, 0
	s_mov_b32 s7, 0
	s_and_b64 vcc, exec, s[28:29]
	s_cbranch_vccnz .LBB30_9
; %bb.6:
	s_mov_b64 s[24:25], 0
	s_mov_b64 s[26:27], 0
	s_cbranch_execz .LBB30_10
	s_branch .LBB30_11
.LBB30_7:
	s_load_dword s30, s[16:17], 0x0
	s_load_dwordx8 s[8:15], s[0:1], 0x60
	s_cbranch_execnz .LBB30_2
.LBB30_8:
	s_waitcnt lgkmcnt(0)
	s_mov_b32 s30, s16
	s_andn2_b64 vcc, exec, s[4:5]
	s_cbranch_vccz .LBB30_3
	s_branch .LBB30_4
.LBB30_9:
	s_mov_b64 s[24:25], 0
	s_mov_b64 s[26:27], 0
.LBB30_10:
	s_lshl_b64 s[4:5], s[6:7], 3
	s_add_u32 s4, s18, s4
	s_addc_u32 s5, s19, s5
	s_load_dwordx2 s[4:5], s[4:5], 0x0
	s_lshl_b64 s[16:17], s[20:21], 2
	s_waitcnt lgkmcnt(0)
	s_add_u32 s26, s4, s16
	s_addc_u32 s27, s5, s17
.LBB30_11:
	s_load_dwordx4 s[16:19], s[0:1], 0x40
	s_load_dwordx2 s[20:21], s[0:1], 0x50
	v_cndmask_b32_e64 v1, 0, 1, s[28:29]
	v_cmp_ne_u32_e64 s[4:5], 1, v1
	s_andn2_b64 vcc, exec, s[28:29]
	s_cbranch_vccnz .LBB30_13
; %bb.12:
	s_lshl_b64 s[24:25], s[6:7], 3
	s_waitcnt lgkmcnt(0)
	s_add_u32 s16, s16, s24
	s_addc_u32 s17, s17, s25
	s_load_dwordx2 s[16:17], s[16:17], 0x0
	s_lshl_b64 s[18:19], s[18:19], 2
	s_waitcnt lgkmcnt(0)
	s_add_u32 s24, s16, s18
	s_addc_u32 s25, s17, s19
.LBB30_13:
	s_waitcnt lgkmcnt(0)
	s_load_dwordx4 s[16:19], s[0:1], 0x8
	v_bfe_u32 v1, v0, 10, 10
	v_lshl_add_u32 v6, s2, 5, v1
	s_waitcnt lgkmcnt(0)
	v_cmp_gt_i32_e32 vcc, s17, v6
	s_and_saveexec_b64 s[0:1], vcc
	s_cbranch_execz .LBB30_23
; %bb.14:
	s_lshl_b64 s[0:1], s[6:7], 3
	s_add_u32 s0, s10, s0
	s_addc_u32 s1, s11, s1
	s_load_dwordx2 s[2:3], s[0:1], 0x0
	s_and_b64 vcc, exec, s[4:5]
	v_and_b32_e32 v7, 0x3ff, v0
	s_cbranch_vccnz .LBB30_22
; %bb.15:
	s_add_i32 s9, s19, s18
	v_cmp_ge_i32_e32 vcc, s9, v7
	v_mov_b32_e32 v1, 0
	s_and_saveexec_b64 s[4:5], vcc
	s_cbranch_execz .LBB30_25
; %bb.16:
	v_ashrrev_i32_e32 v4, 31, v6
	v_mul_lo_u32 v0, s23, v6
	v_mul_lo_u32 v1, s22, v4
	v_mad_u64_u32 v[2:3], s[0:1], s22, v6, 0
	v_add3_u32 v3, v3, v1, v0
	v_lshlrev_b32_e32 v0, 2, v7
	v_mov_b32_e32 v1, 0
	v_lshl_add_u64 v[2:3], v[2:3], 2, v[0:1]
	v_sub_u32_e32 v0, s19, v7
	v_ashrrev_i32_e32 v5, 31, v0
	v_sub_co_u32_e32 v8, vcc, v6, v0
	v_mul_lo_u32 v9, s21, v8
	s_nop 0
	v_subb_co_u32_e32 v4, vcc, v4, v5, vcc
	v_mul_lo_u32 v10, s20, v4
	v_mad_u64_u32 v[4:5], s[0:1], s20, v8, 0
	v_add3_u32 v5, v5, v10, v9
	v_lshl_add_u64 v[2:3], s[26:27], 0, v[2:3]
	v_lshl_add_u64 v[4:5], v[4:5], 2, s[24:25]
	s_lshl_b64 s[10:11], s[20:21], 7
	s_mov_b64 s[6:7], 0
	s_mov_b64 s[20:21], 0x80
	v_mov_b32_e32 v8, v7
	s_branch .LBB30_19
.LBB30_17:                              ;   in Loop: Header=BB30_19 Depth=1
	s_or_b64 exec, exec, s[0:1]
.LBB30_18:                              ;   in Loop: Header=BB30_19 Depth=1
	s_or_b64 exec, exec, s[22:23]
	v_add_u32_e32 v8, 32, v8
	v_cmp_lt_i32_e32 vcc, s9, v8
	v_lshl_add_u64 v[2:3], v[2:3], 0, s[20:21]
	v_lshl_add_u64 v[4:5], v[4:5], 0, s[10:11]
	s_or_b64 s[6:7], vcc, s[6:7]
	v_subrev_u32_e32 v0, 32, v0
	s_andn2_b64 exec, exec, s[6:7]
	s_cbranch_execz .LBB30_24
.LBB30_19:                              ; =>This Inner Loop Header: Depth=1
	v_add_u32_e32 v9, s16, v0
	v_cmp_lt_i32_e32 vcc, v6, v9
	s_and_saveexec_b64 s[22:23], vcc
	s_cbranch_execz .LBB30_18
; %bb.20:                               ;   in Loop: Header=BB30_19 Depth=1
	v_cmp_lt_i32_e32 vcc, s19, v8
	v_cmp_ge_i32_e64 s[0:1], v6, v0
	s_or_b64 s[24:25], vcc, s[0:1]
	s_and_saveexec_b64 s[0:1], s[24:25]
	s_cbranch_execz .LBB30_17
; %bb.21:                               ;   in Loop: Header=BB30_19 Depth=1
	flat_load_dword v9, v[2:3]
	flat_load_dword v10, v[4:5]
	s_waitcnt vmcnt(0) lgkmcnt(0)
	v_fmac_f32_e32 v1, v9, v10
	s_branch .LBB30_17
.LBB30_22:
	v_mov_b32_e32 v2, 0
	v_cmp_eq_u32_e32 vcc, 0, v7
	s_and_b64 exec, exec, vcc
	s_cbranch_execnz .LBB30_26
.LBB30_23:
	s_endpgm
.LBB30_24:
	s_or_b64 exec, exec, s[6:7]
.LBB30_25:
	s_or_b64 exec, exec, s[4:5]
	v_mbcnt_lo_u32_b32 v0, -1, 0
	v_mbcnt_hi_u32_b32 v0, -1, v0
	v_and_b32_e32 v2, 63, v0
	v_cmp_gt_u32_e32 vcc, 48, v2
	s_waitcnt lgkmcnt(0)
	s_barrier
	v_cndmask_b32_e64 v3, 0, 16, vcc
	v_add_lshl_u32 v3, v3, v0, 2
	ds_bpermute_b32 v3, v3, v1
	v_cmp_gt_u32_e32 vcc, 56, v2
	s_waitcnt lgkmcnt(0)
	v_add_f32_e32 v1, v1, v3
	v_cndmask_b32_e64 v4, 0, 8, vcc
	v_add_lshl_u32 v4, v4, v0, 2
	ds_bpermute_b32 v3, v4, v1
	v_cmp_gt_u32_e32 vcc, 60, v2
	s_waitcnt lgkmcnt(0)
	v_add_f32_e32 v1, v1, v3
	;; [unrolled: 6-line block ×3, first 2 shown]
	v_cndmask_b32_e64 v4, 0, 2, vcc
	v_add_lshl_u32 v4, v4, v0, 2
	ds_bpermute_b32 v3, v4, v1
	v_cmp_ne_u32_e32 vcc, 63, v2
	s_waitcnt lgkmcnt(0)
	v_add_f32_e32 v1, v1, v3
	v_addc_co_u32_e32 v0, vcc, 0, v0, vcc
	v_lshlrev_b32_e32 v0, 2, v0
	ds_bpermute_b32 v0, v0, v1
	s_waitcnt lgkmcnt(0)
	v_add_f32_e32 v0, v1, v0
	v_mul_f32_e32 v2, s30, v0
	v_cmp_eq_u32_e32 vcc, 0, v7
	s_and_b64 exec, exec, vcc
	s_cbranch_execz .LBB30_23
.LBB30_26:
	s_lshl_b64 s[0:1], s[12:13], 2
	v_ashrrev_i32_e32 v0, 31, v6
	s_waitcnt lgkmcnt(0)
	s_add_u32 s0, s2, s0
	v_mul_lo_u32 v3, s15, v6
	v_mul_lo_u32 v4, s14, v0
	v_mad_u64_u32 v[0:1], s[4:5], s14, v6, 0
	s_addc_u32 s1, s3, s1
	v_cmp_eq_f32_e64 s[2:3], s8, 0
	v_add3_u32 v1, v1, v4, v3
	v_lshl_add_u64 v[0:1], v[0:1], 2, s[0:1]
	s_and_b64 vcc, exec, s[2:3]
	s_cbranch_vccnz .LBB30_28
; %bb.27:
	flat_load_dword v3, v[0:1]
	s_waitcnt vmcnt(0) lgkmcnt(0)
	v_fmac_f32_e32 v2, s8, v3
.LBB30_28:
	flat_store_dword v[0:1], v2
	s_endpgm
	.section	.rodata,"a",@progbits
	.p2align	6, 0x0
	.amdhsa_kernel _ZL20rocblas_gbmvt_kernelILi32ELi32E24rocblas_internal_val_ptrIfEPKPKfPKPfEvb18rocblas_operation_iiiiT1_T2_lllSB_lllSA_T3_llli
		.amdhsa_group_segment_fixed_size 0
		.amdhsa_private_segment_fixed_size 0
		.amdhsa_kernarg_size 140
		.amdhsa_user_sgpr_count 2
		.amdhsa_user_sgpr_dispatch_ptr 0
		.amdhsa_user_sgpr_queue_ptr 0
		.amdhsa_user_sgpr_kernarg_segment_ptr 1
		.amdhsa_user_sgpr_dispatch_id 0
		.amdhsa_user_sgpr_kernarg_preload_length 0
		.amdhsa_user_sgpr_kernarg_preload_offset 0
		.amdhsa_user_sgpr_private_segment_size 0
		.amdhsa_uses_dynamic_stack 0
		.amdhsa_enable_private_segment 0
		.amdhsa_system_sgpr_workgroup_id_x 1
		.amdhsa_system_sgpr_workgroup_id_y 0
		.amdhsa_system_sgpr_workgroup_id_z 1
		.amdhsa_system_sgpr_workgroup_info 0
		.amdhsa_system_vgpr_workitem_id 1
		.amdhsa_next_free_vgpr 11
		.amdhsa_next_free_sgpr 31
		.amdhsa_accum_offset 12
		.amdhsa_reserve_vcc 1
		.amdhsa_float_round_mode_32 0
		.amdhsa_float_round_mode_16_64 0
		.amdhsa_float_denorm_mode_32 3
		.amdhsa_float_denorm_mode_16_64 3
		.amdhsa_dx10_clamp 1
		.amdhsa_ieee_mode 1
		.amdhsa_fp16_overflow 0
		.amdhsa_tg_split 0
		.amdhsa_exception_fp_ieee_invalid_op 0
		.amdhsa_exception_fp_denorm_src 0
		.amdhsa_exception_fp_ieee_div_zero 0
		.amdhsa_exception_fp_ieee_overflow 0
		.amdhsa_exception_fp_ieee_underflow 0
		.amdhsa_exception_fp_ieee_inexact 0
		.amdhsa_exception_int_div_zero 0
	.end_amdhsa_kernel
	.section	.text._ZL20rocblas_gbmvt_kernelILi32ELi32E24rocblas_internal_val_ptrIfEPKPKfPKPfEvb18rocblas_operation_iiiiT1_T2_lllSB_lllSA_T3_llli,"axG",@progbits,_ZL20rocblas_gbmvt_kernelILi32ELi32E24rocblas_internal_val_ptrIfEPKPKfPKPfEvb18rocblas_operation_iiiiT1_T2_lllSB_lllSA_T3_llli,comdat
.Lfunc_end30:
	.size	_ZL20rocblas_gbmvt_kernelILi32ELi32E24rocblas_internal_val_ptrIfEPKPKfPKPfEvb18rocblas_operation_iiiiT1_T2_lllSB_lllSA_T3_llli, .Lfunc_end30-_ZL20rocblas_gbmvt_kernelILi32ELi32E24rocblas_internal_val_ptrIfEPKPKfPKPfEvb18rocblas_operation_iiiiT1_T2_lllSB_lllSA_T3_llli
                                        ; -- End function
	.set _ZL20rocblas_gbmvt_kernelILi32ELi32E24rocblas_internal_val_ptrIfEPKPKfPKPfEvb18rocblas_operation_iiiiT1_T2_lllSB_lllSA_T3_llli.num_vgpr, 11
	.set _ZL20rocblas_gbmvt_kernelILi32ELi32E24rocblas_internal_val_ptrIfEPKPKfPKPfEvb18rocblas_operation_iiiiT1_T2_lllSB_lllSA_T3_llli.num_agpr, 0
	.set _ZL20rocblas_gbmvt_kernelILi32ELi32E24rocblas_internal_val_ptrIfEPKPKfPKPfEvb18rocblas_operation_iiiiT1_T2_lllSB_lllSA_T3_llli.numbered_sgpr, 31
	.set _ZL20rocblas_gbmvt_kernelILi32ELi32E24rocblas_internal_val_ptrIfEPKPKfPKPfEvb18rocblas_operation_iiiiT1_T2_lllSB_lllSA_T3_llli.num_named_barrier, 0
	.set _ZL20rocblas_gbmvt_kernelILi32ELi32E24rocblas_internal_val_ptrIfEPKPKfPKPfEvb18rocblas_operation_iiiiT1_T2_lllSB_lllSA_T3_llli.private_seg_size, 0
	.set _ZL20rocblas_gbmvt_kernelILi32ELi32E24rocblas_internal_val_ptrIfEPKPKfPKPfEvb18rocblas_operation_iiiiT1_T2_lllSB_lllSA_T3_llli.uses_vcc, 1
	.set _ZL20rocblas_gbmvt_kernelILi32ELi32E24rocblas_internal_val_ptrIfEPKPKfPKPfEvb18rocblas_operation_iiiiT1_T2_lllSB_lllSA_T3_llli.uses_flat_scratch, 0
	.set _ZL20rocblas_gbmvt_kernelILi32ELi32E24rocblas_internal_val_ptrIfEPKPKfPKPfEvb18rocblas_operation_iiiiT1_T2_lllSB_lllSA_T3_llli.has_dyn_sized_stack, 0
	.set _ZL20rocblas_gbmvt_kernelILi32ELi32E24rocblas_internal_val_ptrIfEPKPKfPKPfEvb18rocblas_operation_iiiiT1_T2_lllSB_lllSA_T3_llli.has_recursion, 0
	.set _ZL20rocblas_gbmvt_kernelILi32ELi32E24rocblas_internal_val_ptrIfEPKPKfPKPfEvb18rocblas_operation_iiiiT1_T2_lllSB_lllSA_T3_llli.has_indirect_call, 0
	.section	.AMDGPU.csdata,"",@progbits
; Kernel info:
; codeLenInByte = 1024
; TotalNumSgprs: 37
; NumVgprs: 11
; NumAgprs: 0
; TotalNumVgprs: 11
; ScratchSize: 0
; MemoryBound: 0
; FloatMode: 240
; IeeeMode: 1
; LDSByteSize: 0 bytes/workgroup (compile time only)
; SGPRBlocks: 4
; VGPRBlocks: 1
; NumSGPRsForWavesPerEU: 37
; NumVGPRsForWavesPerEU: 11
; AccumOffset: 12
; Occupancy: 8
; WaveLimiterHint : 1
; COMPUTE_PGM_RSRC2:SCRATCH_EN: 0
; COMPUTE_PGM_RSRC2:USER_SGPR: 2
; COMPUTE_PGM_RSRC2:TRAP_HANDLER: 0
; COMPUTE_PGM_RSRC2:TGID_X_EN: 1
; COMPUTE_PGM_RSRC2:TGID_Y_EN: 0
; COMPUTE_PGM_RSRC2:TGID_Z_EN: 1
; COMPUTE_PGM_RSRC2:TIDIG_COMP_CNT: 1
; COMPUTE_PGM_RSRC3_GFX90A:ACCUM_OFFSET: 2
; COMPUTE_PGM_RSRC3_GFX90A:TG_SPLIT: 0
	.section	.text._ZL20rocblas_gbmvt_kernelILi64ELi16E24rocblas_internal_val_ptrIfEPKPKfPKPfEvb18rocblas_operation_iiiiT1_T2_lllSB_lllSA_T3_llli,"axG",@progbits,_ZL20rocblas_gbmvt_kernelILi64ELi16E24rocblas_internal_val_ptrIfEPKPKfPKPfEvb18rocblas_operation_iiiiT1_T2_lllSB_lllSA_T3_llli,comdat
	.globl	_ZL20rocblas_gbmvt_kernelILi64ELi16E24rocblas_internal_val_ptrIfEPKPKfPKPfEvb18rocblas_operation_iiiiT1_T2_lllSB_lllSA_T3_llli ; -- Begin function _ZL20rocblas_gbmvt_kernelILi64ELi16E24rocblas_internal_val_ptrIfEPKPKfPKPfEvb18rocblas_operation_iiiiT1_T2_lllSB_lllSA_T3_llli
	.p2align	8
	.type	_ZL20rocblas_gbmvt_kernelILi64ELi16E24rocblas_internal_val_ptrIfEPKPKfPKPfEvb18rocblas_operation_iiiiT1_T2_lllSB_lllSA_T3_llli,@function
_ZL20rocblas_gbmvt_kernelILi64ELi16E24rocblas_internal_val_ptrIfEPKPKfPKPfEvb18rocblas_operation_iiiiT1_T2_lllSB_lllSA_T3_llli: ; @_ZL20rocblas_gbmvt_kernelILi64ELi16E24rocblas_internal_val_ptrIfEPKPKfPKPfEvb18rocblas_operation_iiiiT1_T2_lllSB_lllSA_T3_llli
; %bb.0:
	s_mov_b32 s6, s3
	s_load_dword s3, s[0:1], 0x0
	s_load_dwordx8 s[16:23], s[0:1], 0x18
	s_mov_b64 s[24:25], -1
                                        ; implicit-def: $sgpr30
	s_waitcnt lgkmcnt(0)
	s_bitcmp1_b32 s3, 0
	s_cselect_b64 s[4:5], -1, 0
	s_xor_b64 s[4:5], s[4:5], -1
	s_and_b64 vcc, exec, s[4:5]
	s_cbranch_vccnz .LBB31_7
; %bb.1:
	s_load_dwordx8 s[8:15], s[0:1], 0x60
	s_andn2_b64 vcc, exec, s[24:25]
	s_cbranch_vccz .LBB31_8
.LBB31_2:
	s_andn2_b64 vcc, exec, s[4:5]
	s_cbranch_vccnz .LBB31_4
.LBB31_3:
	s_waitcnt lgkmcnt(0)
	s_load_dword s8, s[8:9], 0x0
.LBB31_4:
	s_waitcnt lgkmcnt(0)
	v_cmp_eq_f32_e64 s[4:5], s30, 0
	v_cmp_eq_f32_e64 s[16:17], s8, 1.0
	s_and_b64 s[4:5], s[4:5], s[16:17]
	s_and_b64 vcc, exec, s[4:5]
	s_cbranch_vccnz .LBB31_23
; %bb.5:
	v_cmp_neq_f32_e64 s[28:29], s30, 0
	s_mov_b32 s7, 0
	s_and_b64 vcc, exec, s[28:29]
	s_cbranch_vccnz .LBB31_9
; %bb.6:
	s_mov_b64 s[24:25], 0
	s_mov_b64 s[26:27], 0
	s_cbranch_execz .LBB31_10
	s_branch .LBB31_11
.LBB31_7:
	s_load_dword s30, s[16:17], 0x0
	s_load_dwordx8 s[8:15], s[0:1], 0x60
	s_cbranch_execnz .LBB31_2
.LBB31_8:
	s_waitcnt lgkmcnt(0)
	s_mov_b32 s30, s16
	s_andn2_b64 vcc, exec, s[4:5]
	s_cbranch_vccz .LBB31_3
	s_branch .LBB31_4
.LBB31_9:
	s_mov_b64 s[24:25], 0
	s_mov_b64 s[26:27], 0
.LBB31_10:
	s_lshl_b64 s[4:5], s[6:7], 3
	s_add_u32 s4, s18, s4
	s_addc_u32 s5, s19, s5
	s_load_dwordx2 s[4:5], s[4:5], 0x0
	s_lshl_b64 s[16:17], s[20:21], 2
	s_waitcnt lgkmcnt(0)
	s_add_u32 s26, s4, s16
	s_addc_u32 s27, s5, s17
.LBB31_11:
	s_load_dwordx4 s[16:19], s[0:1], 0x40
	s_load_dwordx2 s[20:21], s[0:1], 0x50
	v_cndmask_b32_e64 v1, 0, 1, s[28:29]
	v_cmp_ne_u32_e64 s[4:5], 1, v1
	s_andn2_b64 vcc, exec, s[28:29]
	s_cbranch_vccnz .LBB31_13
; %bb.12:
	s_lshl_b64 s[24:25], s[6:7], 3
	s_waitcnt lgkmcnt(0)
	s_add_u32 s16, s16, s24
	s_addc_u32 s17, s17, s25
	s_load_dwordx2 s[16:17], s[16:17], 0x0
	s_lshl_b64 s[18:19], s[18:19], 2
	s_waitcnt lgkmcnt(0)
	s_add_u32 s24, s16, s18
	s_addc_u32 s25, s17, s19
.LBB31_13:
	s_waitcnt lgkmcnt(0)
	s_load_dwordx4 s[16:19], s[0:1], 0x8
	v_bfe_u32 v1, v0, 10, 10
	v_lshl_add_u32 v6, s2, 4, v1
	s_waitcnt lgkmcnt(0)
	v_cmp_gt_i32_e32 vcc, s17, v6
	s_and_saveexec_b64 s[0:1], vcc
	s_cbranch_execz .LBB31_23
; %bb.14:
	s_lshl_b64 s[0:1], s[6:7], 3
	s_add_u32 s0, s10, s0
	s_addc_u32 s1, s11, s1
	s_load_dwordx2 s[2:3], s[0:1], 0x0
	s_and_b64 vcc, exec, s[4:5]
	v_and_b32_e32 v7, 0x3ff, v0
	s_cbranch_vccnz .LBB31_22
; %bb.15:
	s_add_i32 s9, s19, s18
	v_cmp_ge_i32_e32 vcc, s9, v7
	v_mov_b32_e32 v1, 0
	s_and_saveexec_b64 s[4:5], vcc
	s_cbranch_execz .LBB31_25
; %bb.16:
	v_ashrrev_i32_e32 v4, 31, v6
	v_mul_lo_u32 v0, s23, v6
	v_mul_lo_u32 v1, s22, v4
	v_mad_u64_u32 v[2:3], s[0:1], s22, v6, 0
	v_add3_u32 v3, v3, v1, v0
	v_lshlrev_b32_e32 v0, 2, v7
	v_mov_b32_e32 v1, 0
	v_lshl_add_u64 v[2:3], v[2:3], 2, v[0:1]
	v_sub_u32_e32 v0, s19, v7
	v_ashrrev_i32_e32 v5, 31, v0
	v_sub_co_u32_e32 v8, vcc, v6, v0
	v_mul_lo_u32 v9, s21, v8
	s_nop 0
	v_subb_co_u32_e32 v4, vcc, v4, v5, vcc
	v_mul_lo_u32 v10, s20, v4
	v_mad_u64_u32 v[4:5], s[0:1], s20, v8, 0
	v_add3_u32 v5, v5, v10, v9
	v_lshl_add_u64 v[2:3], s[26:27], 0, v[2:3]
	v_lshl_add_u64 v[4:5], v[4:5], 2, s[24:25]
	s_lshl_b64 s[10:11], s[20:21], 8
	s_mov_b64 s[6:7], 0
	s_mov_b64 s[20:21], 0x100
	v_mov_b32_e32 v8, v7
	s_branch .LBB31_19
.LBB31_17:                              ;   in Loop: Header=BB31_19 Depth=1
	s_or_b64 exec, exec, s[0:1]
.LBB31_18:                              ;   in Loop: Header=BB31_19 Depth=1
	s_or_b64 exec, exec, s[22:23]
	v_add_u32_e32 v8, 64, v8
	v_cmp_lt_i32_e32 vcc, s9, v8
	v_lshl_add_u64 v[2:3], v[2:3], 0, s[20:21]
	v_lshl_add_u64 v[4:5], v[4:5], 0, s[10:11]
	s_or_b64 s[6:7], vcc, s[6:7]
	v_subrev_u32_e32 v0, 64, v0
	s_andn2_b64 exec, exec, s[6:7]
	s_cbranch_execz .LBB31_24
.LBB31_19:                              ; =>This Inner Loop Header: Depth=1
	v_add_u32_e32 v9, s16, v0
	v_cmp_lt_i32_e32 vcc, v6, v9
	s_and_saveexec_b64 s[22:23], vcc
	s_cbranch_execz .LBB31_18
; %bb.20:                               ;   in Loop: Header=BB31_19 Depth=1
	v_cmp_lt_i32_e32 vcc, s19, v8
	v_cmp_ge_i32_e64 s[0:1], v6, v0
	s_or_b64 s[24:25], vcc, s[0:1]
	s_and_saveexec_b64 s[0:1], s[24:25]
	s_cbranch_execz .LBB31_17
; %bb.21:                               ;   in Loop: Header=BB31_19 Depth=1
	flat_load_dword v9, v[2:3]
	flat_load_dword v10, v[4:5]
	s_waitcnt vmcnt(0) lgkmcnt(0)
	v_fmac_f32_e32 v1, v9, v10
	s_branch .LBB31_17
.LBB31_22:
	v_mov_b32_e32 v2, 0
	v_cmp_eq_u32_e32 vcc, 0, v7
	s_and_b64 exec, exec, vcc
	s_cbranch_execnz .LBB31_26
.LBB31_23:
	s_endpgm
.LBB31_24:
	s_or_b64 exec, exec, s[6:7]
.LBB31_25:
	s_or_b64 exec, exec, s[4:5]
	v_mbcnt_lo_u32_b32 v0, -1, 0
	v_mbcnt_hi_u32_b32 v0, -1, v0
	v_mov_b32_e32 v2, 0x80
	v_lshl_or_b32 v2, v0, 2, v2
	ds_bpermute_b32 v2, v2, v1
	v_and_b32_e32 v3, 63, v0
	v_cmp_gt_u32_e32 vcc, 48, v3
	s_waitcnt lgkmcnt(0)
	s_barrier
	v_cndmask_b32_e64 v4, 0, 16, vcc
	v_add_f32_e32 v1, v1, v2
	v_add_lshl_u32 v2, v4, v0, 2
	ds_bpermute_b32 v2, v2, v1
	v_cmp_gt_u32_e32 vcc, 56, v3
	s_waitcnt lgkmcnt(0)
	v_add_f32_e32 v1, v1, v2
	v_cndmask_b32_e64 v4, 0, 8, vcc
	v_add_lshl_u32 v4, v4, v0, 2
	ds_bpermute_b32 v2, v4, v1
	v_cmp_gt_u32_e32 vcc, 60, v3
	s_waitcnt lgkmcnt(0)
	v_add_f32_e32 v1, v1, v2
	v_cndmask_b32_e64 v4, 0, 4, vcc
	;; [unrolled: 6-line block ×3, first 2 shown]
	v_add_lshl_u32 v4, v4, v0, 2
	ds_bpermute_b32 v2, v4, v1
	v_cmp_ne_u32_e32 vcc, 63, v3
	s_waitcnt lgkmcnt(0)
	v_add_f32_e32 v1, v1, v2
	v_addc_co_u32_e32 v0, vcc, 0, v0, vcc
	v_lshlrev_b32_e32 v0, 2, v0
	ds_bpermute_b32 v0, v0, v1
	s_waitcnt lgkmcnt(0)
	v_add_f32_e32 v0, v1, v0
	v_mul_f32_e32 v2, s30, v0
	v_cmp_eq_u32_e32 vcc, 0, v7
	s_and_b64 exec, exec, vcc
	s_cbranch_execz .LBB31_23
.LBB31_26:
	s_lshl_b64 s[0:1], s[12:13], 2
	v_ashrrev_i32_e32 v0, 31, v6
	s_waitcnt lgkmcnt(0)
	s_add_u32 s0, s2, s0
	v_mul_lo_u32 v3, s15, v6
	v_mul_lo_u32 v4, s14, v0
	v_mad_u64_u32 v[0:1], s[4:5], s14, v6, 0
	s_addc_u32 s1, s3, s1
	v_cmp_eq_f32_e64 s[2:3], s8, 0
	v_add3_u32 v1, v1, v4, v3
	v_lshl_add_u64 v[0:1], v[0:1], 2, s[0:1]
	s_and_b64 vcc, exec, s[2:3]
	s_cbranch_vccnz .LBB31_28
; %bb.27:
	flat_load_dword v3, v[0:1]
	s_waitcnt vmcnt(0) lgkmcnt(0)
	v_fmac_f32_e32 v2, s8, v3
.LBB31_28:
	flat_store_dword v[0:1], v2
	s_endpgm
	.section	.rodata,"a",@progbits
	.p2align	6, 0x0
	.amdhsa_kernel _ZL20rocblas_gbmvt_kernelILi64ELi16E24rocblas_internal_val_ptrIfEPKPKfPKPfEvb18rocblas_operation_iiiiT1_T2_lllSB_lllSA_T3_llli
		.amdhsa_group_segment_fixed_size 0
		.amdhsa_private_segment_fixed_size 0
		.amdhsa_kernarg_size 140
		.amdhsa_user_sgpr_count 2
		.amdhsa_user_sgpr_dispatch_ptr 0
		.amdhsa_user_sgpr_queue_ptr 0
		.amdhsa_user_sgpr_kernarg_segment_ptr 1
		.amdhsa_user_sgpr_dispatch_id 0
		.amdhsa_user_sgpr_kernarg_preload_length 0
		.amdhsa_user_sgpr_kernarg_preload_offset 0
		.amdhsa_user_sgpr_private_segment_size 0
		.amdhsa_uses_dynamic_stack 0
		.amdhsa_enable_private_segment 0
		.amdhsa_system_sgpr_workgroup_id_x 1
		.amdhsa_system_sgpr_workgroup_id_y 0
		.amdhsa_system_sgpr_workgroup_id_z 1
		.amdhsa_system_sgpr_workgroup_info 0
		.amdhsa_system_vgpr_workitem_id 1
		.amdhsa_next_free_vgpr 11
		.amdhsa_next_free_sgpr 31
		.amdhsa_accum_offset 12
		.amdhsa_reserve_vcc 1
		.amdhsa_float_round_mode_32 0
		.amdhsa_float_round_mode_16_64 0
		.amdhsa_float_denorm_mode_32 3
		.amdhsa_float_denorm_mode_16_64 3
		.amdhsa_dx10_clamp 1
		.amdhsa_ieee_mode 1
		.amdhsa_fp16_overflow 0
		.amdhsa_tg_split 0
		.amdhsa_exception_fp_ieee_invalid_op 0
		.amdhsa_exception_fp_denorm_src 0
		.amdhsa_exception_fp_ieee_div_zero 0
		.amdhsa_exception_fp_ieee_overflow 0
		.amdhsa_exception_fp_ieee_underflow 0
		.amdhsa_exception_fp_ieee_inexact 0
		.amdhsa_exception_int_div_zero 0
	.end_amdhsa_kernel
	.section	.text._ZL20rocblas_gbmvt_kernelILi64ELi16E24rocblas_internal_val_ptrIfEPKPKfPKPfEvb18rocblas_operation_iiiiT1_T2_lllSB_lllSA_T3_llli,"axG",@progbits,_ZL20rocblas_gbmvt_kernelILi64ELi16E24rocblas_internal_val_ptrIfEPKPKfPKPfEvb18rocblas_operation_iiiiT1_T2_lllSB_lllSA_T3_llli,comdat
.Lfunc_end31:
	.size	_ZL20rocblas_gbmvt_kernelILi64ELi16E24rocblas_internal_val_ptrIfEPKPKfPKPfEvb18rocblas_operation_iiiiT1_T2_lllSB_lllSA_T3_llli, .Lfunc_end31-_ZL20rocblas_gbmvt_kernelILi64ELi16E24rocblas_internal_val_ptrIfEPKPKfPKPfEvb18rocblas_operation_iiiiT1_T2_lllSB_lllSA_T3_llli
                                        ; -- End function
	.set _ZL20rocblas_gbmvt_kernelILi64ELi16E24rocblas_internal_val_ptrIfEPKPKfPKPfEvb18rocblas_operation_iiiiT1_T2_lllSB_lllSA_T3_llli.num_vgpr, 11
	.set _ZL20rocblas_gbmvt_kernelILi64ELi16E24rocblas_internal_val_ptrIfEPKPKfPKPfEvb18rocblas_operation_iiiiT1_T2_lllSB_lllSA_T3_llli.num_agpr, 0
	.set _ZL20rocblas_gbmvt_kernelILi64ELi16E24rocblas_internal_val_ptrIfEPKPKfPKPfEvb18rocblas_operation_iiiiT1_T2_lllSB_lllSA_T3_llli.numbered_sgpr, 31
	.set _ZL20rocblas_gbmvt_kernelILi64ELi16E24rocblas_internal_val_ptrIfEPKPKfPKPfEvb18rocblas_operation_iiiiT1_T2_lllSB_lllSA_T3_llli.num_named_barrier, 0
	.set _ZL20rocblas_gbmvt_kernelILi64ELi16E24rocblas_internal_val_ptrIfEPKPKfPKPfEvb18rocblas_operation_iiiiT1_T2_lllSB_lllSA_T3_llli.private_seg_size, 0
	.set _ZL20rocblas_gbmvt_kernelILi64ELi16E24rocblas_internal_val_ptrIfEPKPKfPKPfEvb18rocblas_operation_iiiiT1_T2_lllSB_lllSA_T3_llli.uses_vcc, 1
	.set _ZL20rocblas_gbmvt_kernelILi64ELi16E24rocblas_internal_val_ptrIfEPKPKfPKPfEvb18rocblas_operation_iiiiT1_T2_lllSB_lllSA_T3_llli.uses_flat_scratch, 0
	.set _ZL20rocblas_gbmvt_kernelILi64ELi16E24rocblas_internal_val_ptrIfEPKPKfPKPfEvb18rocblas_operation_iiiiT1_T2_lllSB_lllSA_T3_llli.has_dyn_sized_stack, 0
	.set _ZL20rocblas_gbmvt_kernelILi64ELi16E24rocblas_internal_val_ptrIfEPKPKfPKPfEvb18rocblas_operation_iiiiT1_T2_lllSB_lllSA_T3_llli.has_recursion, 0
	.set _ZL20rocblas_gbmvt_kernelILi64ELi16E24rocblas_internal_val_ptrIfEPKPKfPKPfEvb18rocblas_operation_iiiiT1_T2_lllSB_lllSA_T3_llli.has_indirect_call, 0
	.section	.AMDGPU.csdata,"",@progbits
; Kernel info:
; codeLenInByte = 1052
; TotalNumSgprs: 37
; NumVgprs: 11
; NumAgprs: 0
; TotalNumVgprs: 11
; ScratchSize: 0
; MemoryBound: 0
; FloatMode: 240
; IeeeMode: 1
; LDSByteSize: 0 bytes/workgroup (compile time only)
; SGPRBlocks: 4
; VGPRBlocks: 1
; NumSGPRsForWavesPerEU: 37
; NumVGPRsForWavesPerEU: 11
; AccumOffset: 12
; Occupancy: 8
; WaveLimiterHint : 1
; COMPUTE_PGM_RSRC2:SCRATCH_EN: 0
; COMPUTE_PGM_RSRC2:USER_SGPR: 2
; COMPUTE_PGM_RSRC2:TRAP_HANDLER: 0
; COMPUTE_PGM_RSRC2:TGID_X_EN: 1
; COMPUTE_PGM_RSRC2:TGID_Y_EN: 0
; COMPUTE_PGM_RSRC2:TGID_Z_EN: 1
; COMPUTE_PGM_RSRC2:TIDIG_COMP_CNT: 1
; COMPUTE_PGM_RSRC3_GFX90A:ACCUM_OFFSET: 2
; COMPUTE_PGM_RSRC3_GFX90A:TG_SPLIT: 0
	.section	.AMDGPU.gpr_maximums,"",@progbits
	.set amdgpu.max_num_vgpr, 0
	.set amdgpu.max_num_agpr, 0
	.set amdgpu.max_num_sgpr, 0
	.section	.AMDGPU.csdata,"",@progbits
	.type	__hip_cuid_7f2185fb5ff37219,@object ; @__hip_cuid_7f2185fb5ff37219
	.section	.bss,"aw",@nobits
	.globl	__hip_cuid_7f2185fb5ff37219
__hip_cuid_7f2185fb5ff37219:
	.byte	0                               ; 0x0
	.size	__hip_cuid_7f2185fb5ff37219, 1

	.ident	"AMD clang version 22.0.0git (https://github.com/RadeonOpenCompute/llvm-project roc-7.2.4 26084 f58b06dce1f9c15707c5f808fd002e18c2accf7e)"
	.section	".note.GNU-stack","",@progbits
	.addrsig
	.addrsig_sym __hip_cuid_7f2185fb5ff37219
	.amdgpu_metadata
---
amdhsa.kernels:
  - .agpr_count:     0
    .args:
      - .offset:         0
        .size:           1
        .value_kind:     by_value
      - .offset:         4
        .size:           4
        .value_kind:     by_value
      - .offset:         8
        .size:           4
        .value_kind:     by_value
      - .offset:         12
        .size:           4
        .value_kind:     by_value
      - .offset:         16
        .size:           4
        .value_kind:     by_value
      - .offset:         24
        .size:           8
        .value_kind:     by_value
      - .address_space:  global
        .offset:         32
        .size:           8
        .value_kind:     global_buffer
      - .offset:         40
        .size:           8
        .value_kind:     by_value
      - .offset:         48
        .size:           8
        .value_kind:     by_value
      - .offset:         56
        .size:           8
        .value_kind:     by_value
      - .address_space:  global
        .offset:         64
        .size:           8
        .value_kind:     global_buffer
      - .offset:         72
        .size:           8
        .value_kind:     by_value
      - .offset:         80
        .size:           8
        .value_kind:     by_value
      - .offset:         88
        .size:           8
        .value_kind:     by_value
      - .offset:         96
        .size:           8
        .value_kind:     by_value
      - .address_space:  global
        .offset:         104
        .size:           8
        .value_kind:     global_buffer
      - .offset:         112
        .size:           8
        .value_kind:     by_value
      - .offset:         120
        .size:           8
        .value_kind:     by_value
      - .offset:         128
        .size:           8
        .value_kind:     by_value
      - .offset:         136
        .size:           4
        .value_kind:     by_value
    .group_segment_fixed_size: 0
    .kernarg_segment_align: 8
    .kernarg_segment_size: 140
    .language:       OpenCL C
    .language_version:
      - 2
      - 0
    .max_flat_workgroup_size: 1024
    .name:           _ZL20rocblas_gbmvn_kernelILi32ELi32E24rocblas_internal_val_ptrIdEPKPKdPKPdEvbiiiiT1_T2_lllSA_lllS9_T3_llli
    .private_segment_fixed_size: 0
    .sgpr_count:     36
    .sgpr_spill_count: 0
    .symbol:         _ZL20rocblas_gbmvn_kernelILi32ELi32E24rocblas_internal_val_ptrIdEPKPKdPKPdEvbiiiiT1_T2_lllSA_lllS9_T3_llli.kd
    .uniform_work_group_size: 1
    .uses_dynamic_stack: false
    .vgpr_count:     22
    .vgpr_spill_count: 0
    .wavefront_size: 64
  - .agpr_count:     0
    .args:
      - .offset:         0
        .size:           1
        .value_kind:     by_value
      - .offset:         4
        .size:           4
        .value_kind:     by_value
      - .offset:         8
        .size:           4
        .value_kind:     by_value
      - .offset:         12
        .size:           4
        .value_kind:     by_value
      - .offset:         16
        .size:           4
        .value_kind:     by_value
      - .offset:         24
        .size:           8
        .value_kind:     by_value
      - .address_space:  global
        .offset:         32
        .size:           8
        .value_kind:     global_buffer
      - .offset:         40
        .size:           8
        .value_kind:     by_value
      - .offset:         48
        .size:           8
        .value_kind:     by_value
      - .offset:         56
        .size:           8
        .value_kind:     by_value
      - .address_space:  global
        .offset:         64
        .size:           8
        .value_kind:     global_buffer
      - .offset:         72
        .size:           8
        .value_kind:     by_value
      - .offset:         80
        .size:           8
        .value_kind:     by_value
      - .offset:         88
        .size:           8
        .value_kind:     by_value
      - .offset:         96
        .size:           8
        .value_kind:     by_value
      - .address_space:  global
        .offset:         104
        .size:           8
        .value_kind:     global_buffer
      - .offset:         112
        .size:           8
        .value_kind:     by_value
      - .offset:         120
        .size:           8
        .value_kind:     by_value
      - .offset:         128
        .size:           8
        .value_kind:     by_value
      - .offset:         136
        .size:           4
        .value_kind:     by_value
    .group_segment_fixed_size: 0
    .kernarg_segment_align: 8
    .kernarg_segment_size: 140
    .language:       OpenCL C
    .language_version:
      - 2
      - 0
    .max_flat_workgroup_size: 1024
    .name:           _ZL20rocblas_gbmvn_kernelILi64ELi16E24rocblas_internal_val_ptrIdEPKPKdPKPdEvbiiiiT1_T2_lllSA_lllS9_T3_llli
    .private_segment_fixed_size: 0
    .sgpr_count:     36
    .sgpr_spill_count: 0
    .symbol:         _ZL20rocblas_gbmvn_kernelILi64ELi16E24rocblas_internal_val_ptrIdEPKPKdPKPdEvbiiiiT1_T2_lllSA_lllS9_T3_llli.kd
    .uniform_work_group_size: 1
    .uses_dynamic_stack: false
    .vgpr_count:     22
    .vgpr_spill_count: 0
    .wavefront_size: 64
  - .agpr_count:     0
    .args:
      - .offset:         0
        .size:           1
        .value_kind:     by_value
      - .offset:         4
        .size:           4
        .value_kind:     by_value
      - .offset:         8
        .size:           4
        .value_kind:     by_value
      - .offset:         12
        .size:           4
        .value_kind:     by_value
      - .offset:         16
        .size:           4
        .value_kind:     by_value
      - .offset:         20
        .size:           4
        .value_kind:     by_value
      - .offset:         24
        .size:           8
        .value_kind:     by_value
      - .address_space:  global
        .offset:         32
        .size:           8
        .value_kind:     global_buffer
      - .offset:         40
        .size:           8
        .value_kind:     by_value
      - .offset:         48
        .size:           8
        .value_kind:     by_value
      - .offset:         56
        .size:           8
        .value_kind:     by_value
      - .address_space:  global
        .offset:         64
        .size:           8
        .value_kind:     global_buffer
      - .offset:         72
        .size:           8
        .value_kind:     by_value
      - .offset:         80
        .size:           8
        .value_kind:     by_value
      - .offset:         88
        .size:           8
        .value_kind:     by_value
      - .offset:         96
        .size:           8
        .value_kind:     by_value
      - .address_space:  global
        .offset:         104
        .size:           8
        .value_kind:     global_buffer
      - .offset:         112
        .size:           8
        .value_kind:     by_value
      - .offset:         120
        .size:           8
        .value_kind:     by_value
      - .offset:         128
        .size:           8
        .value_kind:     by_value
      - .offset:         136
        .size:           4
        .value_kind:     by_value
    .group_segment_fixed_size: 0
    .kernarg_segment_align: 8
    .kernarg_segment_size: 140
    .language:       OpenCL C
    .language_version:
      - 2
      - 0
    .max_flat_workgroup_size: 1024
    .name:           _ZL20rocblas_gbmvt_kernelILi32ELi32E24rocblas_internal_val_ptrIdEPKPKdPKPdEvb18rocblas_operation_iiiiT1_T2_lllSB_lllSA_T3_llli
    .private_segment_fixed_size: 0
    .sgpr_count:     32
    .sgpr_spill_count: 0
    .symbol:         _ZL20rocblas_gbmvt_kernelILi32ELi32E24rocblas_internal_val_ptrIdEPKPKdPKPdEvb18rocblas_operation_iiiiT1_T2_lllSB_lllSA_T3_llli.kd
    .uniform_work_group_size: 1
    .uses_dynamic_stack: false
    .vgpr_count:     20
    .vgpr_spill_count: 0
    .wavefront_size: 64
  - .agpr_count:     0
    .args:
      - .offset:         0
        .size:           1
        .value_kind:     by_value
      - .offset:         4
        .size:           4
        .value_kind:     by_value
      - .offset:         8
        .size:           4
        .value_kind:     by_value
      - .offset:         12
        .size:           4
        .value_kind:     by_value
      - .offset:         16
        .size:           4
        .value_kind:     by_value
      - .offset:         20
        .size:           4
        .value_kind:     by_value
      - .offset:         24
        .size:           8
        .value_kind:     by_value
      - .address_space:  global
        .offset:         32
        .size:           8
        .value_kind:     global_buffer
      - .offset:         40
        .size:           8
        .value_kind:     by_value
      - .offset:         48
        .size:           8
        .value_kind:     by_value
      - .offset:         56
        .size:           8
        .value_kind:     by_value
      - .address_space:  global
        .offset:         64
        .size:           8
        .value_kind:     global_buffer
      - .offset:         72
        .size:           8
        .value_kind:     by_value
      - .offset:         80
        .size:           8
        .value_kind:     by_value
      - .offset:         88
        .size:           8
        .value_kind:     by_value
      - .offset:         96
        .size:           8
        .value_kind:     by_value
      - .address_space:  global
        .offset:         104
        .size:           8
        .value_kind:     global_buffer
      - .offset:         112
        .size:           8
        .value_kind:     by_value
      - .offset:         120
        .size:           8
        .value_kind:     by_value
      - .offset:         128
        .size:           8
        .value_kind:     by_value
      - .offset:         136
        .size:           4
        .value_kind:     by_value
    .group_segment_fixed_size: 0
    .kernarg_segment_align: 8
    .kernarg_segment_size: 140
    .language:       OpenCL C
    .language_version:
      - 2
      - 0
    .max_flat_workgroup_size: 1024
    .name:           _ZL20rocblas_gbmvt_kernelILi64ELi16E24rocblas_internal_val_ptrIdEPKPKdPKPdEvb18rocblas_operation_iiiiT1_T2_lllSB_lllSA_T3_llli
    .private_segment_fixed_size: 0
    .sgpr_count:     32
    .sgpr_spill_count: 0
    .symbol:         _ZL20rocblas_gbmvt_kernelILi64ELi16E24rocblas_internal_val_ptrIdEPKPKdPKPdEvb18rocblas_operation_iiiiT1_T2_lllSB_lllSA_T3_llli.kd
    .uniform_work_group_size: 1
    .uses_dynamic_stack: false
    .vgpr_count:     20
    .vgpr_spill_count: 0
    .wavefront_size: 64
  - .agpr_count:     0
    .args:
      - .offset:         0
        .size:           1
        .value_kind:     by_value
      - .offset:         4
        .size:           4
        .value_kind:     by_value
      - .offset:         8
        .size:           4
        .value_kind:     by_value
      - .offset:         12
        .size:           4
        .value_kind:     by_value
      - .offset:         16
        .size:           4
        .value_kind:     by_value
      - .offset:         24
        .size:           8
        .value_kind:     by_value
      - .address_space:  global
        .offset:         32
        .size:           8
        .value_kind:     global_buffer
      - .offset:         40
        .size:           8
        .value_kind:     by_value
      - .offset:         48
        .size:           8
        .value_kind:     by_value
      - .offset:         56
        .size:           8
        .value_kind:     by_value
      - .address_space:  global
        .offset:         64
        .size:           8
        .value_kind:     global_buffer
      - .offset:         72
        .size:           8
        .value_kind:     by_value
      - .offset:         80
        .size:           8
        .value_kind:     by_value
      - .offset:         88
        .size:           8
        .value_kind:     by_value
      - .offset:         96
        .size:           8
        .value_kind:     by_value
      - .address_space:  global
        .offset:         104
        .size:           8
        .value_kind:     global_buffer
      - .offset:         112
        .size:           8
        .value_kind:     by_value
      - .offset:         120
        .size:           8
        .value_kind:     by_value
      - .offset:         128
        .size:           8
        .value_kind:     by_value
      - .offset:         136
        .size:           4
        .value_kind:     by_value
    .group_segment_fixed_size: 0
    .kernarg_segment_align: 8
    .kernarg_segment_size: 140
    .language:       OpenCL C
    .language_version:
      - 2
      - 0
    .max_flat_workgroup_size: 1024
    .name:           _ZL20rocblas_gbmvn_kernelILi32ELi32E24rocblas_internal_val_ptrI19rocblas_complex_numIfEEPKPKS2_PKPS2_EvbiiiiT1_T2_lllSC_lllSB_T3_llli
    .private_segment_fixed_size: 0
    .sgpr_count:     42
    .sgpr_spill_count: 0
    .symbol:         _ZL20rocblas_gbmvn_kernelILi32ELi32E24rocblas_internal_val_ptrI19rocblas_complex_numIfEEPKPKS2_PKPS2_EvbiiiiT1_T2_lllSC_lllSB_T3_llli.kd
    .uniform_work_group_size: 1
    .uses_dynamic_stack: false
    .vgpr_count:     15
    .vgpr_spill_count: 0
    .wavefront_size: 64
  - .agpr_count:     0
    .args:
      - .offset:         0
        .size:           1
        .value_kind:     by_value
      - .offset:         4
        .size:           4
        .value_kind:     by_value
      - .offset:         8
        .size:           4
        .value_kind:     by_value
      - .offset:         12
        .size:           4
        .value_kind:     by_value
      - .offset:         16
        .size:           4
        .value_kind:     by_value
      - .offset:         24
        .size:           8
        .value_kind:     by_value
      - .address_space:  global
        .offset:         32
        .size:           8
        .value_kind:     global_buffer
      - .offset:         40
        .size:           8
        .value_kind:     by_value
      - .offset:         48
        .size:           8
        .value_kind:     by_value
      - .offset:         56
        .size:           8
        .value_kind:     by_value
      - .address_space:  global
        .offset:         64
        .size:           8
        .value_kind:     global_buffer
      - .offset:         72
        .size:           8
        .value_kind:     by_value
      - .offset:         80
        .size:           8
        .value_kind:     by_value
      - .offset:         88
        .size:           8
        .value_kind:     by_value
      - .offset:         96
        .size:           8
        .value_kind:     by_value
      - .address_space:  global
        .offset:         104
        .size:           8
        .value_kind:     global_buffer
      - .offset:         112
        .size:           8
        .value_kind:     by_value
      - .offset:         120
        .size:           8
        .value_kind:     by_value
      - .offset:         128
        .size:           8
        .value_kind:     by_value
      - .offset:         136
        .size:           4
        .value_kind:     by_value
    .group_segment_fixed_size: 0
    .kernarg_segment_align: 8
    .kernarg_segment_size: 140
    .language:       OpenCL C
    .language_version:
      - 2
      - 0
    .max_flat_workgroup_size: 1024
    .name:           _ZL20rocblas_gbmvn_kernelILi64ELi16E24rocblas_internal_val_ptrI19rocblas_complex_numIfEEPKPKS2_PKPS2_EvbiiiiT1_T2_lllSC_lllSB_T3_llli
    .private_segment_fixed_size: 0
    .sgpr_count:     42
    .sgpr_spill_count: 0
    .symbol:         _ZL20rocblas_gbmvn_kernelILi64ELi16E24rocblas_internal_val_ptrI19rocblas_complex_numIfEEPKPKS2_PKPS2_EvbiiiiT1_T2_lllSC_lllSB_T3_llli.kd
    .uniform_work_group_size: 1
    .uses_dynamic_stack: false
    .vgpr_count:     15
    .vgpr_spill_count: 0
    .wavefront_size: 64
  - .agpr_count:     0
    .args:
      - .offset:         0
        .size:           1
        .value_kind:     by_value
      - .offset:         4
        .size:           4
        .value_kind:     by_value
      - .offset:         8
        .size:           4
        .value_kind:     by_value
      - .offset:         12
        .size:           4
        .value_kind:     by_value
      - .offset:         16
        .size:           4
        .value_kind:     by_value
      - .offset:         20
        .size:           4
        .value_kind:     by_value
      - .offset:         24
        .size:           8
        .value_kind:     by_value
      - .address_space:  global
        .offset:         32
        .size:           8
        .value_kind:     global_buffer
      - .offset:         40
        .size:           8
        .value_kind:     by_value
      - .offset:         48
        .size:           8
        .value_kind:     by_value
      - .offset:         56
        .size:           8
        .value_kind:     by_value
      - .address_space:  global
        .offset:         64
        .size:           8
        .value_kind:     global_buffer
      - .offset:         72
        .size:           8
        .value_kind:     by_value
      - .offset:         80
        .size:           8
        .value_kind:     by_value
      - .offset:         88
        .size:           8
        .value_kind:     by_value
      - .offset:         96
        .size:           8
        .value_kind:     by_value
      - .address_space:  global
        .offset:         104
        .size:           8
        .value_kind:     global_buffer
      - .offset:         112
        .size:           8
        .value_kind:     by_value
      - .offset:         120
        .size:           8
        .value_kind:     by_value
      - .offset:         128
        .size:           8
        .value_kind:     by_value
      - .offset:         136
        .size:           4
        .value_kind:     by_value
    .group_segment_fixed_size: 0
    .kernarg_segment_align: 8
    .kernarg_segment_size: 140
    .language:       OpenCL C
    .language_version:
      - 2
      - 0
    .max_flat_workgroup_size: 1024
    .name:           _ZL20rocblas_gbmvt_kernelILi32ELi32E24rocblas_internal_val_ptrI19rocblas_complex_numIfEEPKPKS2_PKPS2_Evb18rocblas_operation_iiiiT1_T2_lllSD_lllSC_T3_llli
    .private_segment_fixed_size: 0
    .sgpr_count:     44
    .sgpr_spill_count: 0
    .symbol:         _ZL20rocblas_gbmvt_kernelILi32ELi32E24rocblas_internal_val_ptrI19rocblas_complex_numIfEEPKPKS2_PKPS2_Evb18rocblas_operation_iiiiT1_T2_lllSD_lllSC_T3_llli.kd
    .uniform_work_group_size: 1
    .uses_dynamic_stack: false
    .vgpr_count:     15
    .vgpr_spill_count: 0
    .wavefront_size: 64
  - .agpr_count:     0
    .args:
      - .offset:         0
        .size:           1
        .value_kind:     by_value
      - .offset:         4
        .size:           4
        .value_kind:     by_value
      - .offset:         8
        .size:           4
        .value_kind:     by_value
      - .offset:         12
        .size:           4
        .value_kind:     by_value
      - .offset:         16
        .size:           4
        .value_kind:     by_value
      - .offset:         20
        .size:           4
        .value_kind:     by_value
      - .offset:         24
        .size:           8
        .value_kind:     by_value
      - .address_space:  global
        .offset:         32
        .size:           8
        .value_kind:     global_buffer
      - .offset:         40
        .size:           8
        .value_kind:     by_value
      - .offset:         48
        .size:           8
        .value_kind:     by_value
      - .offset:         56
        .size:           8
        .value_kind:     by_value
      - .address_space:  global
        .offset:         64
        .size:           8
        .value_kind:     global_buffer
      - .offset:         72
        .size:           8
        .value_kind:     by_value
      - .offset:         80
        .size:           8
        .value_kind:     by_value
      - .offset:         88
        .size:           8
        .value_kind:     by_value
      - .offset:         96
        .size:           8
        .value_kind:     by_value
      - .address_space:  global
        .offset:         104
        .size:           8
        .value_kind:     global_buffer
      - .offset:         112
        .size:           8
        .value_kind:     by_value
      - .offset:         120
        .size:           8
        .value_kind:     by_value
      - .offset:         128
        .size:           8
        .value_kind:     by_value
      - .offset:         136
        .size:           4
        .value_kind:     by_value
    .group_segment_fixed_size: 0
    .kernarg_segment_align: 8
    .kernarg_segment_size: 140
    .language:       OpenCL C
    .language_version:
      - 2
      - 0
    .max_flat_workgroup_size: 1024
    .name:           _ZL20rocblas_gbmvt_kernelILi64ELi16E24rocblas_internal_val_ptrI19rocblas_complex_numIfEEPKPKS2_PKPS2_Evb18rocblas_operation_iiiiT1_T2_lllSD_lllSC_T3_llli
    .private_segment_fixed_size: 0
    .sgpr_count:     44
    .sgpr_spill_count: 0
    .symbol:         _ZL20rocblas_gbmvt_kernelILi64ELi16E24rocblas_internal_val_ptrI19rocblas_complex_numIfEEPKPKS2_PKPS2_Evb18rocblas_operation_iiiiT1_T2_lllSD_lllSC_T3_llli.kd
    .uniform_work_group_size: 1
    .uses_dynamic_stack: false
    .vgpr_count:     15
    .vgpr_spill_count: 0
    .wavefront_size: 64
  - .agpr_count:     0
    .args:
      - .offset:         0
        .size:           1
        .value_kind:     by_value
      - .offset:         4
        .size:           4
        .value_kind:     by_value
      - .offset:         8
        .size:           4
        .value_kind:     by_value
      - .offset:         12
        .size:           4
        .value_kind:     by_value
      - .offset:         16
        .size:           4
        .value_kind:     by_value
      - .offset:         24
        .size:           16
        .value_kind:     by_value
      - .address_space:  global
        .offset:         40
        .size:           8
        .value_kind:     global_buffer
      - .offset:         48
        .size:           8
        .value_kind:     by_value
      - .offset:         56
        .size:           8
        .value_kind:     by_value
      - .offset:         64
        .size:           8
        .value_kind:     by_value
      - .address_space:  global
        .offset:         72
        .size:           8
        .value_kind:     global_buffer
      - .offset:         80
        .size:           8
        .value_kind:     by_value
      - .offset:         88
        .size:           8
        .value_kind:     by_value
      - .offset:         96
        .size:           8
        .value_kind:     by_value
      - .offset:         104
        .size:           16
        .value_kind:     by_value
      - .address_space:  global
        .offset:         120
        .size:           8
        .value_kind:     global_buffer
      - .offset:         128
        .size:           8
        .value_kind:     by_value
      - .offset:         136
        .size:           8
        .value_kind:     by_value
      - .offset:         144
        .size:           8
        .value_kind:     by_value
      - .offset:         152
        .size:           4
        .value_kind:     by_value
    .group_segment_fixed_size: 0
    .kernarg_segment_align: 8
    .kernarg_segment_size: 156
    .language:       OpenCL C
    .language_version:
      - 2
      - 0
    .max_flat_workgroup_size: 1024
    .name:           _ZL20rocblas_gbmvn_kernelILi32ELi32E24rocblas_internal_val_ptrI19rocblas_complex_numIdEEPKPKS2_PKPS2_EvbiiiiT1_T2_lllSC_lllSB_T3_llli
    .private_segment_fixed_size: 0
    .sgpr_count:     48
    .sgpr_spill_count: 0
    .symbol:         _ZL20rocblas_gbmvn_kernelILi32ELi32E24rocblas_internal_val_ptrI19rocblas_complex_numIdEEPKPKS2_PKPS2_EvbiiiiT1_T2_lllSC_lllSB_T3_llli.kd
    .uniform_work_group_size: 1
    .uses_dynamic_stack: false
    .vgpr_count:     22
    .vgpr_spill_count: 0
    .wavefront_size: 64
  - .agpr_count:     0
    .args:
      - .offset:         0
        .size:           1
        .value_kind:     by_value
      - .offset:         4
        .size:           4
        .value_kind:     by_value
      - .offset:         8
        .size:           4
        .value_kind:     by_value
      - .offset:         12
        .size:           4
        .value_kind:     by_value
      - .offset:         16
        .size:           4
        .value_kind:     by_value
      - .offset:         24
        .size:           16
        .value_kind:     by_value
      - .address_space:  global
        .offset:         40
        .size:           8
        .value_kind:     global_buffer
      - .offset:         48
        .size:           8
        .value_kind:     by_value
      - .offset:         56
        .size:           8
        .value_kind:     by_value
      - .offset:         64
        .size:           8
        .value_kind:     by_value
      - .address_space:  global
        .offset:         72
        .size:           8
        .value_kind:     global_buffer
      - .offset:         80
        .size:           8
        .value_kind:     by_value
      - .offset:         88
        .size:           8
        .value_kind:     by_value
      - .offset:         96
        .size:           8
        .value_kind:     by_value
      - .offset:         104
        .size:           16
        .value_kind:     by_value
      - .address_space:  global
        .offset:         120
        .size:           8
        .value_kind:     global_buffer
      - .offset:         128
        .size:           8
        .value_kind:     by_value
      - .offset:         136
        .size:           8
        .value_kind:     by_value
      - .offset:         144
        .size:           8
        .value_kind:     by_value
      - .offset:         152
        .size:           4
        .value_kind:     by_value
    .group_segment_fixed_size: 0
    .kernarg_segment_align: 8
    .kernarg_segment_size: 156
    .language:       OpenCL C
    .language_version:
      - 2
      - 0
    .max_flat_workgroup_size: 1024
    .name:           _ZL20rocblas_gbmvn_kernelILi64ELi16E24rocblas_internal_val_ptrI19rocblas_complex_numIdEEPKPKS2_PKPS2_EvbiiiiT1_T2_lllSC_lllSB_T3_llli
    .private_segment_fixed_size: 0
    .sgpr_count:     48
    .sgpr_spill_count: 0
    .symbol:         _ZL20rocblas_gbmvn_kernelILi64ELi16E24rocblas_internal_val_ptrI19rocblas_complex_numIdEEPKPKS2_PKPS2_EvbiiiiT1_T2_lllSC_lllSB_T3_llli.kd
    .uniform_work_group_size: 1
    .uses_dynamic_stack: false
    .vgpr_count:     22
    .vgpr_spill_count: 0
    .wavefront_size: 64
  - .agpr_count:     0
    .args:
      - .offset:         0
        .size:           1
        .value_kind:     by_value
      - .offset:         4
        .size:           4
        .value_kind:     by_value
      - .offset:         8
        .size:           4
        .value_kind:     by_value
      - .offset:         12
        .size:           4
        .value_kind:     by_value
      - .offset:         16
        .size:           4
        .value_kind:     by_value
      - .offset:         20
        .size:           4
        .value_kind:     by_value
      - .offset:         24
        .size:           16
        .value_kind:     by_value
      - .address_space:  global
        .offset:         40
        .size:           8
        .value_kind:     global_buffer
      - .offset:         48
        .size:           8
        .value_kind:     by_value
      - .offset:         56
        .size:           8
        .value_kind:     by_value
      - .offset:         64
        .size:           8
        .value_kind:     by_value
      - .address_space:  global
        .offset:         72
        .size:           8
        .value_kind:     global_buffer
      - .offset:         80
        .size:           8
        .value_kind:     by_value
      - .offset:         88
        .size:           8
        .value_kind:     by_value
      - .offset:         96
        .size:           8
        .value_kind:     by_value
      - .offset:         104
        .size:           16
        .value_kind:     by_value
      - .address_space:  global
        .offset:         120
        .size:           8
        .value_kind:     global_buffer
      - .offset:         128
        .size:           8
        .value_kind:     by_value
      - .offset:         136
        .size:           8
        .value_kind:     by_value
      - .offset:         144
        .size:           8
        .value_kind:     by_value
      - .offset:         152
        .size:           4
        .value_kind:     by_value
    .group_segment_fixed_size: 0
    .kernarg_segment_align: 8
    .kernarg_segment_size: 156
    .language:       OpenCL C
    .language_version:
      - 2
      - 0
    .max_flat_workgroup_size: 1024
    .name:           _ZL20rocblas_gbmvt_kernelILi32ELi32E24rocblas_internal_val_ptrI19rocblas_complex_numIdEEPKPKS2_PKPS2_Evb18rocblas_operation_iiiiT1_T2_lllSD_lllSC_T3_llli
    .private_segment_fixed_size: 0
    .sgpr_count:     48
    .sgpr_spill_count: 0
    .symbol:         _ZL20rocblas_gbmvt_kernelILi32ELi32E24rocblas_internal_val_ptrI19rocblas_complex_numIdEEPKPKS2_PKPS2_Evb18rocblas_operation_iiiiT1_T2_lllSD_lllSC_T3_llli.kd
    .uniform_work_group_size: 1
    .uses_dynamic_stack: false
    .vgpr_count:     23
    .vgpr_spill_count: 0
    .wavefront_size: 64
  - .agpr_count:     0
    .args:
      - .offset:         0
        .size:           1
        .value_kind:     by_value
      - .offset:         4
        .size:           4
        .value_kind:     by_value
      - .offset:         8
        .size:           4
        .value_kind:     by_value
      - .offset:         12
        .size:           4
        .value_kind:     by_value
      - .offset:         16
        .size:           4
        .value_kind:     by_value
      - .offset:         20
        .size:           4
        .value_kind:     by_value
      - .offset:         24
        .size:           16
        .value_kind:     by_value
      - .address_space:  global
        .offset:         40
        .size:           8
        .value_kind:     global_buffer
      - .offset:         48
        .size:           8
        .value_kind:     by_value
      - .offset:         56
        .size:           8
        .value_kind:     by_value
      - .offset:         64
        .size:           8
        .value_kind:     by_value
      - .address_space:  global
        .offset:         72
        .size:           8
        .value_kind:     global_buffer
      - .offset:         80
        .size:           8
        .value_kind:     by_value
      - .offset:         88
        .size:           8
        .value_kind:     by_value
      - .offset:         96
        .size:           8
        .value_kind:     by_value
      - .offset:         104
        .size:           16
        .value_kind:     by_value
      - .address_space:  global
        .offset:         120
        .size:           8
        .value_kind:     global_buffer
      - .offset:         128
        .size:           8
        .value_kind:     by_value
      - .offset:         136
        .size:           8
        .value_kind:     by_value
      - .offset:         144
        .size:           8
        .value_kind:     by_value
      - .offset:         152
        .size:           4
        .value_kind:     by_value
    .group_segment_fixed_size: 0
    .kernarg_segment_align: 8
    .kernarg_segment_size: 156
    .language:       OpenCL C
    .language_version:
      - 2
      - 0
    .max_flat_workgroup_size: 1024
    .name:           _ZL20rocblas_gbmvt_kernelILi64ELi16E24rocblas_internal_val_ptrI19rocblas_complex_numIdEEPKPKS2_PKPS2_Evb18rocblas_operation_iiiiT1_T2_lllSD_lllSC_T3_llli
    .private_segment_fixed_size: 0
    .sgpr_count:     48
    .sgpr_spill_count: 0
    .symbol:         _ZL20rocblas_gbmvt_kernelILi64ELi16E24rocblas_internal_val_ptrI19rocblas_complex_numIdEEPKPKS2_PKPS2_Evb18rocblas_operation_iiiiT1_T2_lllSD_lllSC_T3_llli.kd
    .uniform_work_group_size: 1
    .uses_dynamic_stack: false
    .vgpr_count:     23
    .vgpr_spill_count: 0
    .wavefront_size: 64
  - .agpr_count:     0
    .args:
      - .offset:         0
        .size:           1
        .value_kind:     by_value
      - .offset:         4
        .size:           4
        .value_kind:     by_value
      - .offset:         8
        .size:           4
        .value_kind:     by_value
      - .offset:         12
        .size:           4
        .value_kind:     by_value
      - .offset:         16
        .size:           4
        .value_kind:     by_value
      - .offset:         24
        .size:           8
        .value_kind:     by_value
      - .address_space:  global
        .offset:         32
        .size:           8
        .value_kind:     global_buffer
      - .offset:         40
        .size:           8
        .value_kind:     by_value
      - .offset:         48
        .size:           8
        .value_kind:     by_value
      - .offset:         56
        .size:           8
        .value_kind:     by_value
      - .address_space:  global
        .offset:         64
        .size:           8
        .value_kind:     global_buffer
      - .offset:         72
        .size:           8
        .value_kind:     by_value
      - .offset:         80
        .size:           8
        .value_kind:     by_value
      - .offset:         88
        .size:           8
        .value_kind:     by_value
      - .offset:         96
        .size:           8
        .value_kind:     by_value
      - .address_space:  global
        .offset:         104
        .size:           8
        .value_kind:     global_buffer
      - .offset:         112
        .size:           8
        .value_kind:     by_value
      - .offset:         120
        .size:           8
        .value_kind:     by_value
      - .offset:         128
        .size:           8
        .value_kind:     by_value
      - .offset:         136
        .size:           4
        .value_kind:     by_value
    .group_segment_fixed_size: 0
    .kernarg_segment_align: 8
    .kernarg_segment_size: 140
    .language:       OpenCL C
    .language_version:
      - 2
      - 0
    .max_flat_workgroup_size: 1024
    .name:           _ZL20rocblas_gbmvn_kernelILi32ELi32E24rocblas_internal_val_ptrIfEPKfPfEvbiiiiT1_T2_lllS6_lllS5_T3_llli
    .private_segment_fixed_size: 0
    .sgpr_count:     48
    .sgpr_spill_count: 0
    .symbol:         _ZL20rocblas_gbmvn_kernelILi32ELi32E24rocblas_internal_val_ptrIfEPKfPfEvbiiiiT1_T2_lllS6_lllS5_T3_llli.kd
    .uniform_work_group_size: 1
    .uses_dynamic_stack: false
    .vgpr_count:     11
    .vgpr_spill_count: 0
    .wavefront_size: 64
  - .agpr_count:     0
    .args:
      - .offset:         0
        .size:           1
        .value_kind:     by_value
      - .offset:         4
        .size:           4
        .value_kind:     by_value
      - .offset:         8
        .size:           4
        .value_kind:     by_value
      - .offset:         12
        .size:           4
        .value_kind:     by_value
      - .offset:         16
        .size:           4
        .value_kind:     by_value
      - .offset:         24
        .size:           8
        .value_kind:     by_value
      - .address_space:  global
        .offset:         32
        .size:           8
        .value_kind:     global_buffer
      - .offset:         40
        .size:           8
        .value_kind:     by_value
      - .offset:         48
        .size:           8
        .value_kind:     by_value
      - .offset:         56
        .size:           8
        .value_kind:     by_value
      - .address_space:  global
        .offset:         64
        .size:           8
        .value_kind:     global_buffer
      - .offset:         72
        .size:           8
        .value_kind:     by_value
      - .offset:         80
        .size:           8
        .value_kind:     by_value
      - .offset:         88
        .size:           8
        .value_kind:     by_value
      - .offset:         96
        .size:           8
        .value_kind:     by_value
      - .address_space:  global
        .offset:         104
        .size:           8
        .value_kind:     global_buffer
      - .offset:         112
        .size:           8
        .value_kind:     by_value
      - .offset:         120
        .size:           8
        .value_kind:     by_value
      - .offset:         128
        .size:           8
        .value_kind:     by_value
      - .offset:         136
        .size:           4
        .value_kind:     by_value
    .group_segment_fixed_size: 0
    .kernarg_segment_align: 8
    .kernarg_segment_size: 140
    .language:       OpenCL C
    .language_version:
      - 2
      - 0
    .max_flat_workgroup_size: 1024
    .name:           _ZL20rocblas_gbmvn_kernelILi64ELi16E24rocblas_internal_val_ptrIfEPKfPfEvbiiiiT1_T2_lllS6_lllS5_T3_llli
    .private_segment_fixed_size: 0
    .sgpr_count:     48
    .sgpr_spill_count: 0
    .symbol:         _ZL20rocblas_gbmvn_kernelILi64ELi16E24rocblas_internal_val_ptrIfEPKfPfEvbiiiiT1_T2_lllS6_lllS5_T3_llli.kd
    .uniform_work_group_size: 1
    .uses_dynamic_stack: false
    .vgpr_count:     11
    .vgpr_spill_count: 0
    .wavefront_size: 64
  - .agpr_count:     0
    .args:
      - .offset:         0
        .size:           1
        .value_kind:     by_value
      - .offset:         4
        .size:           4
        .value_kind:     by_value
      - .offset:         8
        .size:           4
        .value_kind:     by_value
      - .offset:         12
        .size:           4
        .value_kind:     by_value
      - .offset:         16
        .size:           4
        .value_kind:     by_value
      - .offset:         20
        .size:           4
        .value_kind:     by_value
      - .offset:         24
        .size:           8
        .value_kind:     by_value
      - .address_space:  global
        .offset:         32
        .size:           8
        .value_kind:     global_buffer
      - .offset:         40
        .size:           8
        .value_kind:     by_value
      - .offset:         48
        .size:           8
        .value_kind:     by_value
      - .offset:         56
        .size:           8
        .value_kind:     by_value
      - .address_space:  global
        .offset:         64
        .size:           8
        .value_kind:     global_buffer
      - .offset:         72
        .size:           8
        .value_kind:     by_value
      - .offset:         80
        .size:           8
        .value_kind:     by_value
      - .offset:         88
        .size:           8
        .value_kind:     by_value
      - .offset:         96
        .size:           8
        .value_kind:     by_value
      - .address_space:  global
        .offset:         104
        .size:           8
        .value_kind:     global_buffer
      - .offset:         112
        .size:           8
        .value_kind:     by_value
      - .offset:         120
        .size:           8
        .value_kind:     by_value
      - .offset:         128
        .size:           8
        .value_kind:     by_value
      - .offset:         136
        .size:           4
        .value_kind:     by_value
    .group_segment_fixed_size: 0
    .kernarg_segment_align: 8
    .kernarg_segment_size: 140
    .language:       OpenCL C
    .language_version:
      - 2
      - 0
    .max_flat_workgroup_size: 1024
    .name:           _ZL20rocblas_gbmvt_kernelILi32ELi32E24rocblas_internal_val_ptrIfEPKfPfEvb18rocblas_operation_iiiiT1_T2_lllS7_lllS6_T3_llli
    .private_segment_fixed_size: 0
    .sgpr_count:     46
    .sgpr_spill_count: 0
    .symbol:         _ZL20rocblas_gbmvt_kernelILi32ELi32E24rocblas_internal_val_ptrIfEPKfPfEvb18rocblas_operation_iiiiT1_T2_lllS7_lllS6_T3_llli.kd
    .uniform_work_group_size: 1
    .uses_dynamic_stack: false
    .vgpr_count:     11
    .vgpr_spill_count: 0
    .wavefront_size: 64
  - .agpr_count:     0
    .args:
      - .offset:         0
        .size:           1
        .value_kind:     by_value
      - .offset:         4
        .size:           4
        .value_kind:     by_value
      - .offset:         8
        .size:           4
        .value_kind:     by_value
      - .offset:         12
        .size:           4
        .value_kind:     by_value
      - .offset:         16
        .size:           4
        .value_kind:     by_value
      - .offset:         20
        .size:           4
        .value_kind:     by_value
      - .offset:         24
        .size:           8
        .value_kind:     by_value
      - .address_space:  global
        .offset:         32
        .size:           8
        .value_kind:     global_buffer
      - .offset:         40
        .size:           8
        .value_kind:     by_value
      - .offset:         48
        .size:           8
        .value_kind:     by_value
      - .offset:         56
        .size:           8
        .value_kind:     by_value
      - .address_space:  global
        .offset:         64
        .size:           8
        .value_kind:     global_buffer
      - .offset:         72
        .size:           8
        .value_kind:     by_value
      - .offset:         80
        .size:           8
        .value_kind:     by_value
      - .offset:         88
        .size:           8
        .value_kind:     by_value
      - .offset:         96
        .size:           8
        .value_kind:     by_value
      - .address_space:  global
        .offset:         104
        .size:           8
        .value_kind:     global_buffer
      - .offset:         112
        .size:           8
        .value_kind:     by_value
      - .offset:         120
        .size:           8
        .value_kind:     by_value
      - .offset:         128
        .size:           8
        .value_kind:     by_value
      - .offset:         136
        .size:           4
        .value_kind:     by_value
    .group_segment_fixed_size: 0
    .kernarg_segment_align: 8
    .kernarg_segment_size: 140
    .language:       OpenCL C
    .language_version:
      - 2
      - 0
    .max_flat_workgroup_size: 1024
    .name:           _ZL20rocblas_gbmvt_kernelILi64ELi16E24rocblas_internal_val_ptrIfEPKfPfEvb18rocblas_operation_iiiiT1_T2_lllS7_lllS6_T3_llli
    .private_segment_fixed_size: 0
    .sgpr_count:     46
    .sgpr_spill_count: 0
    .symbol:         _ZL20rocblas_gbmvt_kernelILi64ELi16E24rocblas_internal_val_ptrIfEPKfPfEvb18rocblas_operation_iiiiT1_T2_lllS7_lllS6_T3_llli.kd
    .uniform_work_group_size: 1
    .uses_dynamic_stack: false
    .vgpr_count:     11
    .vgpr_spill_count: 0
    .wavefront_size: 64
  - .agpr_count:     0
    .args:
      - .offset:         0
        .size:           1
        .value_kind:     by_value
      - .offset:         4
        .size:           4
        .value_kind:     by_value
      - .offset:         8
        .size:           4
        .value_kind:     by_value
      - .offset:         12
        .size:           4
        .value_kind:     by_value
      - .offset:         16
        .size:           4
        .value_kind:     by_value
      - .offset:         24
        .size:           8
        .value_kind:     by_value
      - .address_space:  global
        .offset:         32
        .size:           8
        .value_kind:     global_buffer
      - .offset:         40
        .size:           8
        .value_kind:     by_value
      - .offset:         48
        .size:           8
        .value_kind:     by_value
      - .offset:         56
        .size:           8
        .value_kind:     by_value
      - .address_space:  global
        .offset:         64
        .size:           8
        .value_kind:     global_buffer
      - .offset:         72
        .size:           8
        .value_kind:     by_value
      - .offset:         80
        .size:           8
        .value_kind:     by_value
      - .offset:         88
        .size:           8
        .value_kind:     by_value
      - .offset:         96
        .size:           8
        .value_kind:     by_value
      - .address_space:  global
        .offset:         104
        .size:           8
        .value_kind:     global_buffer
      - .offset:         112
        .size:           8
        .value_kind:     by_value
      - .offset:         120
        .size:           8
        .value_kind:     by_value
      - .offset:         128
        .size:           8
        .value_kind:     by_value
      - .offset:         136
        .size:           4
        .value_kind:     by_value
    .group_segment_fixed_size: 0
    .kernarg_segment_align: 8
    .kernarg_segment_size: 140
    .language:       OpenCL C
    .language_version:
      - 2
      - 0
    .max_flat_workgroup_size: 1024
    .name:           _ZL20rocblas_gbmvn_kernelILi32ELi32E24rocblas_internal_val_ptrIdEPKdPdEvbiiiiT1_T2_lllS6_lllS5_T3_llli
    .private_segment_fixed_size: 0
    .sgpr_count:     48
    .sgpr_spill_count: 0
    .symbol:         _ZL20rocblas_gbmvn_kernelILi32ELi32E24rocblas_internal_val_ptrIdEPKdPdEvbiiiiT1_T2_lllS6_lllS5_T3_llli.kd
    .uniform_work_group_size: 1
    .uses_dynamic_stack: false
    .vgpr_count:     20
    .vgpr_spill_count: 0
    .wavefront_size: 64
  - .agpr_count:     0
    .args:
      - .offset:         0
        .size:           1
        .value_kind:     by_value
      - .offset:         4
        .size:           4
        .value_kind:     by_value
      - .offset:         8
        .size:           4
        .value_kind:     by_value
      - .offset:         12
        .size:           4
        .value_kind:     by_value
      - .offset:         16
        .size:           4
        .value_kind:     by_value
      - .offset:         24
        .size:           8
        .value_kind:     by_value
      - .address_space:  global
        .offset:         32
        .size:           8
        .value_kind:     global_buffer
      - .offset:         40
        .size:           8
        .value_kind:     by_value
      - .offset:         48
        .size:           8
        .value_kind:     by_value
      - .offset:         56
        .size:           8
        .value_kind:     by_value
      - .address_space:  global
        .offset:         64
        .size:           8
        .value_kind:     global_buffer
      - .offset:         72
        .size:           8
        .value_kind:     by_value
      - .offset:         80
        .size:           8
        .value_kind:     by_value
      - .offset:         88
        .size:           8
        .value_kind:     by_value
      - .offset:         96
        .size:           8
        .value_kind:     by_value
      - .address_space:  global
        .offset:         104
        .size:           8
        .value_kind:     global_buffer
      - .offset:         112
        .size:           8
        .value_kind:     by_value
      - .offset:         120
        .size:           8
        .value_kind:     by_value
      - .offset:         128
        .size:           8
        .value_kind:     by_value
      - .offset:         136
        .size:           4
        .value_kind:     by_value
    .group_segment_fixed_size: 0
    .kernarg_segment_align: 8
    .kernarg_segment_size: 140
    .language:       OpenCL C
    .language_version:
      - 2
      - 0
    .max_flat_workgroup_size: 1024
    .name:           _ZL20rocblas_gbmvn_kernelILi64ELi16E24rocblas_internal_val_ptrIdEPKdPdEvbiiiiT1_T2_lllS6_lllS5_T3_llli
    .private_segment_fixed_size: 0
    .sgpr_count:     48
    .sgpr_spill_count: 0
    .symbol:         _ZL20rocblas_gbmvn_kernelILi64ELi16E24rocblas_internal_val_ptrIdEPKdPdEvbiiiiT1_T2_lllS6_lllS5_T3_llli.kd
    .uniform_work_group_size: 1
    .uses_dynamic_stack: false
    .vgpr_count:     20
    .vgpr_spill_count: 0
    .wavefront_size: 64
  - .agpr_count:     0
    .args:
      - .offset:         0
        .size:           1
        .value_kind:     by_value
      - .offset:         4
        .size:           4
        .value_kind:     by_value
      - .offset:         8
        .size:           4
        .value_kind:     by_value
      - .offset:         12
        .size:           4
        .value_kind:     by_value
      - .offset:         16
        .size:           4
        .value_kind:     by_value
      - .offset:         20
        .size:           4
        .value_kind:     by_value
      - .offset:         24
        .size:           8
        .value_kind:     by_value
      - .address_space:  global
        .offset:         32
        .size:           8
        .value_kind:     global_buffer
      - .offset:         40
        .size:           8
        .value_kind:     by_value
      - .offset:         48
        .size:           8
        .value_kind:     by_value
      - .offset:         56
        .size:           8
        .value_kind:     by_value
      - .address_space:  global
        .offset:         64
        .size:           8
        .value_kind:     global_buffer
      - .offset:         72
        .size:           8
        .value_kind:     by_value
      - .offset:         80
        .size:           8
        .value_kind:     by_value
      - .offset:         88
        .size:           8
        .value_kind:     by_value
      - .offset:         96
        .size:           8
        .value_kind:     by_value
      - .address_space:  global
        .offset:         104
        .size:           8
        .value_kind:     global_buffer
      - .offset:         112
        .size:           8
        .value_kind:     by_value
      - .offset:         120
        .size:           8
        .value_kind:     by_value
      - .offset:         128
        .size:           8
        .value_kind:     by_value
      - .offset:         136
        .size:           4
        .value_kind:     by_value
    .group_segment_fixed_size: 0
    .kernarg_segment_align: 8
    .kernarg_segment_size: 140
    .language:       OpenCL C
    .language_version:
      - 2
      - 0
    .max_flat_workgroup_size: 1024
    .name:           _ZL20rocblas_gbmvt_kernelILi32ELi32E24rocblas_internal_val_ptrIdEPKdPdEvb18rocblas_operation_iiiiT1_T2_lllS7_lllS6_T3_llli
    .private_segment_fixed_size: 0
    .sgpr_count:     46
    .sgpr_spill_count: 0
    .symbol:         _ZL20rocblas_gbmvt_kernelILi32ELi32E24rocblas_internal_val_ptrIdEPKdPdEvb18rocblas_operation_iiiiT1_T2_lllS7_lllS6_T3_llli.kd
    .uniform_work_group_size: 1
    .uses_dynamic_stack: false
    .vgpr_count:     18
    .vgpr_spill_count: 0
    .wavefront_size: 64
  - .agpr_count:     0
    .args:
      - .offset:         0
        .size:           1
        .value_kind:     by_value
      - .offset:         4
        .size:           4
        .value_kind:     by_value
      - .offset:         8
        .size:           4
        .value_kind:     by_value
      - .offset:         12
        .size:           4
        .value_kind:     by_value
      - .offset:         16
        .size:           4
        .value_kind:     by_value
      - .offset:         20
        .size:           4
        .value_kind:     by_value
      - .offset:         24
        .size:           8
        .value_kind:     by_value
      - .address_space:  global
        .offset:         32
        .size:           8
        .value_kind:     global_buffer
      - .offset:         40
        .size:           8
        .value_kind:     by_value
      - .offset:         48
        .size:           8
        .value_kind:     by_value
      - .offset:         56
        .size:           8
        .value_kind:     by_value
      - .address_space:  global
        .offset:         64
        .size:           8
        .value_kind:     global_buffer
      - .offset:         72
        .size:           8
        .value_kind:     by_value
      - .offset:         80
        .size:           8
        .value_kind:     by_value
      - .offset:         88
        .size:           8
        .value_kind:     by_value
      - .offset:         96
        .size:           8
        .value_kind:     by_value
      - .address_space:  global
        .offset:         104
        .size:           8
        .value_kind:     global_buffer
      - .offset:         112
        .size:           8
        .value_kind:     by_value
      - .offset:         120
        .size:           8
        .value_kind:     by_value
      - .offset:         128
        .size:           8
        .value_kind:     by_value
      - .offset:         136
        .size:           4
        .value_kind:     by_value
    .group_segment_fixed_size: 0
    .kernarg_segment_align: 8
    .kernarg_segment_size: 140
    .language:       OpenCL C
    .language_version:
      - 2
      - 0
    .max_flat_workgroup_size: 1024
    .name:           _ZL20rocblas_gbmvt_kernelILi64ELi16E24rocblas_internal_val_ptrIdEPKdPdEvb18rocblas_operation_iiiiT1_T2_lllS7_lllS6_T3_llli
    .private_segment_fixed_size: 0
    .sgpr_count:     46
    .sgpr_spill_count: 0
    .symbol:         _ZL20rocblas_gbmvt_kernelILi64ELi16E24rocblas_internal_val_ptrIdEPKdPdEvb18rocblas_operation_iiiiT1_T2_lllS7_lllS6_T3_llli.kd
    .uniform_work_group_size: 1
    .uses_dynamic_stack: false
    .vgpr_count:     18
    .vgpr_spill_count: 0
    .wavefront_size: 64
  - .agpr_count:     0
    .args:
      - .offset:         0
        .size:           1
        .value_kind:     by_value
      - .offset:         4
        .size:           4
        .value_kind:     by_value
      - .offset:         8
        .size:           4
        .value_kind:     by_value
      - .offset:         12
        .size:           4
        .value_kind:     by_value
      - .offset:         16
        .size:           4
        .value_kind:     by_value
      - .offset:         24
        .size:           8
        .value_kind:     by_value
      - .address_space:  global
        .offset:         32
        .size:           8
        .value_kind:     global_buffer
      - .offset:         40
        .size:           8
        .value_kind:     by_value
      - .offset:         48
        .size:           8
        .value_kind:     by_value
      - .offset:         56
        .size:           8
        .value_kind:     by_value
      - .address_space:  global
        .offset:         64
        .size:           8
        .value_kind:     global_buffer
      - .offset:         72
        .size:           8
        .value_kind:     by_value
      - .offset:         80
        .size:           8
        .value_kind:     by_value
      - .offset:         88
        .size:           8
        .value_kind:     by_value
      - .offset:         96
        .size:           8
        .value_kind:     by_value
      - .address_space:  global
        .offset:         104
        .size:           8
        .value_kind:     global_buffer
      - .offset:         112
        .size:           8
        .value_kind:     by_value
      - .offset:         120
        .size:           8
        .value_kind:     by_value
      - .offset:         128
        .size:           8
        .value_kind:     by_value
      - .offset:         136
        .size:           4
        .value_kind:     by_value
    .group_segment_fixed_size: 0
    .kernarg_segment_align: 8
    .kernarg_segment_size: 140
    .language:       OpenCL C
    .language_version:
      - 2
      - 0
    .max_flat_workgroup_size: 1024
    .name:           _ZL20rocblas_gbmvn_kernelILi32ELi32E24rocblas_internal_val_ptrI19rocblas_complex_numIfEEPKS2_PS2_EvbiiiiT1_T2_lllS8_lllS7_T3_llli
    .private_segment_fixed_size: 0
    .sgpr_count:     50
    .sgpr_spill_count: 0
    .symbol:         _ZL20rocblas_gbmvn_kernelILi32ELi32E24rocblas_internal_val_ptrI19rocblas_complex_numIfEEPKS2_PS2_EvbiiiiT1_T2_lllS8_lllS7_T3_llli.kd
    .uniform_work_group_size: 1
    .uses_dynamic_stack: false
    .vgpr_count:     15
    .vgpr_spill_count: 0
    .wavefront_size: 64
  - .agpr_count:     0
    .args:
      - .offset:         0
        .size:           1
        .value_kind:     by_value
      - .offset:         4
        .size:           4
        .value_kind:     by_value
      - .offset:         8
        .size:           4
        .value_kind:     by_value
      - .offset:         12
        .size:           4
        .value_kind:     by_value
      - .offset:         16
        .size:           4
        .value_kind:     by_value
      - .offset:         24
        .size:           8
        .value_kind:     by_value
      - .address_space:  global
        .offset:         32
        .size:           8
        .value_kind:     global_buffer
      - .offset:         40
        .size:           8
        .value_kind:     by_value
      - .offset:         48
        .size:           8
        .value_kind:     by_value
      - .offset:         56
        .size:           8
        .value_kind:     by_value
      - .address_space:  global
        .offset:         64
        .size:           8
        .value_kind:     global_buffer
      - .offset:         72
        .size:           8
        .value_kind:     by_value
      - .offset:         80
        .size:           8
        .value_kind:     by_value
      - .offset:         88
        .size:           8
        .value_kind:     by_value
      - .offset:         96
        .size:           8
        .value_kind:     by_value
      - .address_space:  global
        .offset:         104
        .size:           8
        .value_kind:     global_buffer
      - .offset:         112
        .size:           8
        .value_kind:     by_value
      - .offset:         120
        .size:           8
        .value_kind:     by_value
      - .offset:         128
        .size:           8
        .value_kind:     by_value
      - .offset:         136
        .size:           4
        .value_kind:     by_value
    .group_segment_fixed_size: 0
    .kernarg_segment_align: 8
    .kernarg_segment_size: 140
    .language:       OpenCL C
    .language_version:
      - 2
      - 0
    .max_flat_workgroup_size: 1024
    .name:           _ZL20rocblas_gbmvn_kernelILi64ELi16E24rocblas_internal_val_ptrI19rocblas_complex_numIfEEPKS2_PS2_EvbiiiiT1_T2_lllS8_lllS7_T3_llli
    .private_segment_fixed_size: 0
    .sgpr_count:     50
    .sgpr_spill_count: 0
    .symbol:         _ZL20rocblas_gbmvn_kernelILi64ELi16E24rocblas_internal_val_ptrI19rocblas_complex_numIfEEPKS2_PS2_EvbiiiiT1_T2_lllS8_lllS7_T3_llli.kd
    .uniform_work_group_size: 1
    .uses_dynamic_stack: false
    .vgpr_count:     15
    .vgpr_spill_count: 0
    .wavefront_size: 64
  - .agpr_count:     0
    .args:
      - .offset:         0
        .size:           1
        .value_kind:     by_value
      - .offset:         4
        .size:           4
        .value_kind:     by_value
      - .offset:         8
        .size:           4
        .value_kind:     by_value
      - .offset:         12
        .size:           4
        .value_kind:     by_value
      - .offset:         16
        .size:           4
        .value_kind:     by_value
      - .offset:         20
        .size:           4
        .value_kind:     by_value
      - .offset:         24
        .size:           8
        .value_kind:     by_value
      - .address_space:  global
        .offset:         32
        .size:           8
        .value_kind:     global_buffer
      - .offset:         40
        .size:           8
        .value_kind:     by_value
      - .offset:         48
        .size:           8
        .value_kind:     by_value
      - .offset:         56
        .size:           8
        .value_kind:     by_value
      - .address_space:  global
        .offset:         64
        .size:           8
        .value_kind:     global_buffer
      - .offset:         72
        .size:           8
        .value_kind:     by_value
      - .offset:         80
        .size:           8
        .value_kind:     by_value
      - .offset:         88
        .size:           8
        .value_kind:     by_value
      - .offset:         96
        .size:           8
        .value_kind:     by_value
      - .address_space:  global
        .offset:         104
        .size:           8
        .value_kind:     global_buffer
      - .offset:         112
        .size:           8
        .value_kind:     by_value
      - .offset:         120
        .size:           8
        .value_kind:     by_value
      - .offset:         128
        .size:           8
        .value_kind:     by_value
      - .offset:         136
        .size:           4
        .value_kind:     by_value
    .group_segment_fixed_size: 0
    .kernarg_segment_align: 8
    .kernarg_segment_size: 140
    .language:       OpenCL C
    .language_version:
      - 2
      - 0
    .max_flat_workgroup_size: 1024
    .name:           _ZL20rocblas_gbmvt_kernelILi32ELi32E24rocblas_internal_val_ptrI19rocblas_complex_numIfEEPKS2_PS2_Evb18rocblas_operation_iiiiT1_T2_lllS9_lllS8_T3_llli
    .private_segment_fixed_size: 0
    .sgpr_count:     50
    .sgpr_spill_count: 0
    .symbol:         _ZL20rocblas_gbmvt_kernelILi32ELi32E24rocblas_internal_val_ptrI19rocblas_complex_numIfEEPKS2_PS2_Evb18rocblas_operation_iiiiT1_T2_lllS9_lllS8_T3_llli.kd
    .uniform_work_group_size: 1
    .uses_dynamic_stack: false
    .vgpr_count:     15
    .vgpr_spill_count: 0
    .wavefront_size: 64
  - .agpr_count:     0
    .args:
      - .offset:         0
        .size:           1
        .value_kind:     by_value
      - .offset:         4
        .size:           4
        .value_kind:     by_value
      - .offset:         8
        .size:           4
        .value_kind:     by_value
      - .offset:         12
        .size:           4
        .value_kind:     by_value
      - .offset:         16
        .size:           4
        .value_kind:     by_value
      - .offset:         20
        .size:           4
        .value_kind:     by_value
      - .offset:         24
        .size:           8
        .value_kind:     by_value
      - .address_space:  global
        .offset:         32
        .size:           8
        .value_kind:     global_buffer
      - .offset:         40
        .size:           8
        .value_kind:     by_value
      - .offset:         48
        .size:           8
        .value_kind:     by_value
      - .offset:         56
        .size:           8
        .value_kind:     by_value
      - .address_space:  global
        .offset:         64
        .size:           8
        .value_kind:     global_buffer
      - .offset:         72
        .size:           8
        .value_kind:     by_value
      - .offset:         80
        .size:           8
        .value_kind:     by_value
      - .offset:         88
        .size:           8
        .value_kind:     by_value
      - .offset:         96
        .size:           8
        .value_kind:     by_value
      - .address_space:  global
        .offset:         104
        .size:           8
        .value_kind:     global_buffer
      - .offset:         112
        .size:           8
        .value_kind:     by_value
      - .offset:         120
        .size:           8
        .value_kind:     by_value
      - .offset:         128
        .size:           8
        .value_kind:     by_value
      - .offset:         136
        .size:           4
        .value_kind:     by_value
    .group_segment_fixed_size: 0
    .kernarg_segment_align: 8
    .kernarg_segment_size: 140
    .language:       OpenCL C
    .language_version:
      - 2
      - 0
    .max_flat_workgroup_size: 1024
    .name:           _ZL20rocblas_gbmvt_kernelILi64ELi16E24rocblas_internal_val_ptrI19rocblas_complex_numIfEEPKS2_PS2_Evb18rocblas_operation_iiiiT1_T2_lllS9_lllS8_T3_llli
    .private_segment_fixed_size: 0
    .sgpr_count:     50
    .sgpr_spill_count: 0
    .symbol:         _ZL20rocblas_gbmvt_kernelILi64ELi16E24rocblas_internal_val_ptrI19rocblas_complex_numIfEEPKS2_PS2_Evb18rocblas_operation_iiiiT1_T2_lllS9_lllS8_T3_llli.kd
    .uniform_work_group_size: 1
    .uses_dynamic_stack: false
    .vgpr_count:     15
    .vgpr_spill_count: 0
    .wavefront_size: 64
  - .agpr_count:     0
    .args:
      - .offset:         0
        .size:           1
        .value_kind:     by_value
      - .offset:         4
        .size:           4
        .value_kind:     by_value
      - .offset:         8
        .size:           4
        .value_kind:     by_value
      - .offset:         12
        .size:           4
        .value_kind:     by_value
      - .offset:         16
        .size:           4
        .value_kind:     by_value
      - .offset:         24
        .size:           16
        .value_kind:     by_value
      - .address_space:  global
        .offset:         40
        .size:           8
        .value_kind:     global_buffer
      - .offset:         48
        .size:           8
        .value_kind:     by_value
      - .offset:         56
        .size:           8
        .value_kind:     by_value
      - .offset:         64
        .size:           8
        .value_kind:     by_value
      - .address_space:  global
        .offset:         72
        .size:           8
        .value_kind:     global_buffer
      - .offset:         80
        .size:           8
        .value_kind:     by_value
      - .offset:         88
        .size:           8
        .value_kind:     by_value
      - .offset:         96
        .size:           8
        .value_kind:     by_value
      - .offset:         104
        .size:           16
        .value_kind:     by_value
      - .address_space:  global
        .offset:         120
        .size:           8
        .value_kind:     global_buffer
      - .offset:         128
        .size:           8
        .value_kind:     by_value
      - .offset:         136
        .size:           8
        .value_kind:     by_value
      - .offset:         144
        .size:           8
        .value_kind:     by_value
      - .offset:         152
        .size:           4
        .value_kind:     by_value
    .group_segment_fixed_size: 0
    .kernarg_segment_align: 8
    .kernarg_segment_size: 156
    .language:       OpenCL C
    .language_version:
      - 2
      - 0
    .max_flat_workgroup_size: 1024
    .name:           _ZL20rocblas_gbmvn_kernelILi32ELi32E24rocblas_internal_val_ptrI19rocblas_complex_numIdEEPKS2_PS2_EvbiiiiT1_T2_lllS8_lllS7_T3_llli
    .private_segment_fixed_size: 0
    .sgpr_count:     50
    .sgpr_spill_count: 0
    .symbol:         _ZL20rocblas_gbmvn_kernelILi32ELi32E24rocblas_internal_val_ptrI19rocblas_complex_numIdEEPKS2_PS2_EvbiiiiT1_T2_lllS8_lllS7_T3_llli.kd
    .uniform_work_group_size: 1
    .uses_dynamic_stack: false
    .vgpr_count:     22
    .vgpr_spill_count: 0
    .wavefront_size: 64
  - .agpr_count:     0
    .args:
      - .offset:         0
        .size:           1
        .value_kind:     by_value
      - .offset:         4
        .size:           4
        .value_kind:     by_value
      - .offset:         8
        .size:           4
        .value_kind:     by_value
      - .offset:         12
        .size:           4
        .value_kind:     by_value
      - .offset:         16
        .size:           4
        .value_kind:     by_value
      - .offset:         24
        .size:           16
        .value_kind:     by_value
      - .address_space:  global
        .offset:         40
        .size:           8
        .value_kind:     global_buffer
      - .offset:         48
        .size:           8
        .value_kind:     by_value
      - .offset:         56
        .size:           8
        .value_kind:     by_value
      - .offset:         64
        .size:           8
        .value_kind:     by_value
      - .address_space:  global
        .offset:         72
        .size:           8
        .value_kind:     global_buffer
      - .offset:         80
        .size:           8
        .value_kind:     by_value
      - .offset:         88
        .size:           8
        .value_kind:     by_value
      - .offset:         96
        .size:           8
        .value_kind:     by_value
      - .offset:         104
        .size:           16
        .value_kind:     by_value
      - .address_space:  global
        .offset:         120
        .size:           8
        .value_kind:     global_buffer
      - .offset:         128
        .size:           8
        .value_kind:     by_value
      - .offset:         136
        .size:           8
        .value_kind:     by_value
      - .offset:         144
        .size:           8
        .value_kind:     by_value
      - .offset:         152
        .size:           4
        .value_kind:     by_value
    .group_segment_fixed_size: 0
    .kernarg_segment_align: 8
    .kernarg_segment_size: 156
    .language:       OpenCL C
    .language_version:
      - 2
      - 0
    .max_flat_workgroup_size: 1024
    .name:           _ZL20rocblas_gbmvn_kernelILi64ELi16E24rocblas_internal_val_ptrI19rocblas_complex_numIdEEPKS2_PS2_EvbiiiiT1_T2_lllS8_lllS7_T3_llli
    .private_segment_fixed_size: 0
    .sgpr_count:     50
    .sgpr_spill_count: 0
    .symbol:         _ZL20rocblas_gbmvn_kernelILi64ELi16E24rocblas_internal_val_ptrI19rocblas_complex_numIdEEPKS2_PS2_EvbiiiiT1_T2_lllS8_lllS7_T3_llli.kd
    .uniform_work_group_size: 1
    .uses_dynamic_stack: false
    .vgpr_count:     22
    .vgpr_spill_count: 0
    .wavefront_size: 64
  - .agpr_count:     0
    .args:
      - .offset:         0
        .size:           1
        .value_kind:     by_value
      - .offset:         4
        .size:           4
        .value_kind:     by_value
      - .offset:         8
        .size:           4
        .value_kind:     by_value
      - .offset:         12
        .size:           4
        .value_kind:     by_value
      - .offset:         16
        .size:           4
        .value_kind:     by_value
      - .offset:         20
        .size:           4
        .value_kind:     by_value
      - .offset:         24
        .size:           16
        .value_kind:     by_value
      - .address_space:  global
        .offset:         40
        .size:           8
        .value_kind:     global_buffer
      - .offset:         48
        .size:           8
        .value_kind:     by_value
      - .offset:         56
        .size:           8
        .value_kind:     by_value
      - .offset:         64
        .size:           8
        .value_kind:     by_value
      - .address_space:  global
        .offset:         72
        .size:           8
        .value_kind:     global_buffer
      - .offset:         80
        .size:           8
        .value_kind:     by_value
      - .offset:         88
        .size:           8
        .value_kind:     by_value
      - .offset:         96
        .size:           8
        .value_kind:     by_value
      - .offset:         104
        .size:           16
        .value_kind:     by_value
      - .address_space:  global
        .offset:         120
        .size:           8
        .value_kind:     global_buffer
      - .offset:         128
        .size:           8
        .value_kind:     by_value
      - .offset:         136
        .size:           8
        .value_kind:     by_value
      - .offset:         144
        .size:           8
        .value_kind:     by_value
      - .offset:         152
        .size:           4
        .value_kind:     by_value
    .group_segment_fixed_size: 0
    .kernarg_segment_align: 8
    .kernarg_segment_size: 156
    .language:       OpenCL C
    .language_version:
      - 2
      - 0
    .max_flat_workgroup_size: 1024
    .name:           _ZL20rocblas_gbmvt_kernelILi32ELi32E24rocblas_internal_val_ptrI19rocblas_complex_numIdEEPKS2_PS2_Evb18rocblas_operation_iiiiT1_T2_lllS9_lllS8_T3_llli
    .private_segment_fixed_size: 0
    .sgpr_count:     52
    .sgpr_spill_count: 0
    .symbol:         _ZL20rocblas_gbmvt_kernelILi32ELi32E24rocblas_internal_val_ptrI19rocblas_complex_numIdEEPKS2_PS2_Evb18rocblas_operation_iiiiT1_T2_lllS9_lllS8_T3_llli.kd
    .uniform_work_group_size: 1
    .uses_dynamic_stack: false
    .vgpr_count:     23
    .vgpr_spill_count: 0
    .wavefront_size: 64
  - .agpr_count:     0
    .args:
      - .offset:         0
        .size:           1
        .value_kind:     by_value
      - .offset:         4
        .size:           4
        .value_kind:     by_value
      - .offset:         8
        .size:           4
        .value_kind:     by_value
      - .offset:         12
        .size:           4
        .value_kind:     by_value
      - .offset:         16
        .size:           4
        .value_kind:     by_value
      - .offset:         20
        .size:           4
        .value_kind:     by_value
      - .offset:         24
        .size:           16
        .value_kind:     by_value
      - .address_space:  global
        .offset:         40
        .size:           8
        .value_kind:     global_buffer
      - .offset:         48
        .size:           8
        .value_kind:     by_value
      - .offset:         56
        .size:           8
        .value_kind:     by_value
      - .offset:         64
        .size:           8
        .value_kind:     by_value
      - .address_space:  global
        .offset:         72
        .size:           8
        .value_kind:     global_buffer
      - .offset:         80
        .size:           8
        .value_kind:     by_value
      - .offset:         88
        .size:           8
        .value_kind:     by_value
      - .offset:         96
        .size:           8
        .value_kind:     by_value
      - .offset:         104
        .size:           16
        .value_kind:     by_value
      - .address_space:  global
        .offset:         120
        .size:           8
        .value_kind:     global_buffer
      - .offset:         128
        .size:           8
        .value_kind:     by_value
      - .offset:         136
        .size:           8
        .value_kind:     by_value
      - .offset:         144
        .size:           8
        .value_kind:     by_value
      - .offset:         152
        .size:           4
        .value_kind:     by_value
    .group_segment_fixed_size: 0
    .kernarg_segment_align: 8
    .kernarg_segment_size: 156
    .language:       OpenCL C
    .language_version:
      - 2
      - 0
    .max_flat_workgroup_size: 1024
    .name:           _ZL20rocblas_gbmvt_kernelILi64ELi16E24rocblas_internal_val_ptrI19rocblas_complex_numIdEEPKS2_PS2_Evb18rocblas_operation_iiiiT1_T2_lllS9_lllS8_T3_llli
    .private_segment_fixed_size: 0
    .sgpr_count:     52
    .sgpr_spill_count: 0
    .symbol:         _ZL20rocblas_gbmvt_kernelILi64ELi16E24rocblas_internal_val_ptrI19rocblas_complex_numIdEEPKS2_PS2_Evb18rocblas_operation_iiiiT1_T2_lllS9_lllS8_T3_llli.kd
    .uniform_work_group_size: 1
    .uses_dynamic_stack: false
    .vgpr_count:     23
    .vgpr_spill_count: 0
    .wavefront_size: 64
  - .agpr_count:     0
    .args:
      - .offset:         0
        .size:           1
        .value_kind:     by_value
      - .offset:         4
        .size:           4
        .value_kind:     by_value
      - .offset:         8
        .size:           4
        .value_kind:     by_value
      - .offset:         12
        .size:           4
        .value_kind:     by_value
      - .offset:         16
        .size:           4
        .value_kind:     by_value
      - .offset:         24
        .size:           8
        .value_kind:     by_value
      - .address_space:  global
        .offset:         32
        .size:           8
        .value_kind:     global_buffer
      - .offset:         40
        .size:           8
        .value_kind:     by_value
      - .offset:         48
        .size:           8
        .value_kind:     by_value
      - .offset:         56
        .size:           8
        .value_kind:     by_value
      - .address_space:  global
        .offset:         64
        .size:           8
        .value_kind:     global_buffer
      - .offset:         72
        .size:           8
        .value_kind:     by_value
      - .offset:         80
        .size:           8
        .value_kind:     by_value
      - .offset:         88
        .size:           8
        .value_kind:     by_value
      - .offset:         96
        .size:           8
        .value_kind:     by_value
      - .address_space:  global
        .offset:         104
        .size:           8
        .value_kind:     global_buffer
      - .offset:         112
        .size:           8
        .value_kind:     by_value
      - .offset:         120
        .size:           8
        .value_kind:     by_value
      - .offset:         128
        .size:           8
        .value_kind:     by_value
      - .offset:         136
        .size:           4
        .value_kind:     by_value
    .group_segment_fixed_size: 0
    .kernarg_segment_align: 8
    .kernarg_segment_size: 140
    .language:       OpenCL C
    .language_version:
      - 2
      - 0
    .max_flat_workgroup_size: 1024
    .name:           _ZL20rocblas_gbmvn_kernelILi32ELi32E24rocblas_internal_val_ptrIfEPKPKfPKPfEvbiiiiT1_T2_lllSA_lllS9_T3_llli
    .private_segment_fixed_size: 0
    .sgpr_count:     42
    .sgpr_spill_count: 0
    .symbol:         _ZL20rocblas_gbmvn_kernelILi32ELi32E24rocblas_internal_val_ptrIfEPKPKfPKPfEvbiiiiT1_T2_lllSA_lllS9_T3_llli.kd
    .uniform_work_group_size: 1
    .uses_dynamic_stack: false
    .vgpr_count:     12
    .vgpr_spill_count: 0
    .wavefront_size: 64
  - .agpr_count:     0
    .args:
      - .offset:         0
        .size:           1
        .value_kind:     by_value
      - .offset:         4
        .size:           4
        .value_kind:     by_value
      - .offset:         8
        .size:           4
        .value_kind:     by_value
      - .offset:         12
        .size:           4
        .value_kind:     by_value
      - .offset:         16
        .size:           4
        .value_kind:     by_value
      - .offset:         24
        .size:           8
        .value_kind:     by_value
      - .address_space:  global
        .offset:         32
        .size:           8
        .value_kind:     global_buffer
      - .offset:         40
        .size:           8
        .value_kind:     by_value
      - .offset:         48
        .size:           8
        .value_kind:     by_value
      - .offset:         56
        .size:           8
        .value_kind:     by_value
      - .address_space:  global
        .offset:         64
        .size:           8
        .value_kind:     global_buffer
      - .offset:         72
        .size:           8
        .value_kind:     by_value
      - .offset:         80
        .size:           8
        .value_kind:     by_value
      - .offset:         88
        .size:           8
        .value_kind:     by_value
      - .offset:         96
        .size:           8
        .value_kind:     by_value
      - .address_space:  global
        .offset:         104
        .size:           8
        .value_kind:     global_buffer
      - .offset:         112
        .size:           8
        .value_kind:     by_value
      - .offset:         120
        .size:           8
        .value_kind:     by_value
      - .offset:         128
        .size:           8
        .value_kind:     by_value
      - .offset:         136
        .size:           4
        .value_kind:     by_value
    .group_segment_fixed_size: 0
    .kernarg_segment_align: 8
    .kernarg_segment_size: 140
    .language:       OpenCL C
    .language_version:
      - 2
      - 0
    .max_flat_workgroup_size: 1024
    .name:           _ZL20rocblas_gbmvn_kernelILi64ELi16E24rocblas_internal_val_ptrIfEPKPKfPKPfEvbiiiiT1_T2_lllSA_lllS9_T3_llli
    .private_segment_fixed_size: 0
    .sgpr_count:     42
    .sgpr_spill_count: 0
    .symbol:         _ZL20rocblas_gbmvn_kernelILi64ELi16E24rocblas_internal_val_ptrIfEPKPKfPKPfEvbiiiiT1_T2_lllSA_lllS9_T3_llli.kd
    .uniform_work_group_size: 1
    .uses_dynamic_stack: false
    .vgpr_count:     12
    .vgpr_spill_count: 0
    .wavefront_size: 64
  - .agpr_count:     0
    .args:
      - .offset:         0
        .size:           1
        .value_kind:     by_value
      - .offset:         4
        .size:           4
        .value_kind:     by_value
      - .offset:         8
        .size:           4
        .value_kind:     by_value
      - .offset:         12
        .size:           4
        .value_kind:     by_value
      - .offset:         16
        .size:           4
        .value_kind:     by_value
      - .offset:         20
        .size:           4
        .value_kind:     by_value
      - .offset:         24
        .size:           8
        .value_kind:     by_value
      - .address_space:  global
        .offset:         32
        .size:           8
        .value_kind:     global_buffer
      - .offset:         40
        .size:           8
        .value_kind:     by_value
      - .offset:         48
        .size:           8
        .value_kind:     by_value
      - .offset:         56
        .size:           8
        .value_kind:     by_value
      - .address_space:  global
        .offset:         64
        .size:           8
        .value_kind:     global_buffer
      - .offset:         72
        .size:           8
        .value_kind:     by_value
      - .offset:         80
        .size:           8
        .value_kind:     by_value
      - .offset:         88
        .size:           8
        .value_kind:     by_value
      - .offset:         96
        .size:           8
        .value_kind:     by_value
      - .address_space:  global
        .offset:         104
        .size:           8
        .value_kind:     global_buffer
      - .offset:         112
        .size:           8
        .value_kind:     by_value
      - .offset:         120
        .size:           8
        .value_kind:     by_value
      - .offset:         128
        .size:           8
        .value_kind:     by_value
      - .offset:         136
        .size:           4
        .value_kind:     by_value
    .group_segment_fixed_size: 0
    .kernarg_segment_align: 8
    .kernarg_segment_size: 140
    .language:       OpenCL C
    .language_version:
      - 2
      - 0
    .max_flat_workgroup_size: 1024
    .name:           _ZL20rocblas_gbmvt_kernelILi32ELi32E24rocblas_internal_val_ptrIfEPKPKfPKPfEvb18rocblas_operation_iiiiT1_T2_lllSB_lllSA_T3_llli
    .private_segment_fixed_size: 0
    .sgpr_count:     37
    .sgpr_spill_count: 0
    .symbol:         _ZL20rocblas_gbmvt_kernelILi32ELi32E24rocblas_internal_val_ptrIfEPKPKfPKPfEvb18rocblas_operation_iiiiT1_T2_lllSB_lllSA_T3_llli.kd
    .uniform_work_group_size: 1
    .uses_dynamic_stack: false
    .vgpr_count:     11
    .vgpr_spill_count: 0
    .wavefront_size: 64
  - .agpr_count:     0
    .args:
      - .offset:         0
        .size:           1
        .value_kind:     by_value
      - .offset:         4
        .size:           4
        .value_kind:     by_value
      - .offset:         8
        .size:           4
        .value_kind:     by_value
      - .offset:         12
        .size:           4
        .value_kind:     by_value
      - .offset:         16
        .size:           4
        .value_kind:     by_value
      - .offset:         20
        .size:           4
        .value_kind:     by_value
      - .offset:         24
        .size:           8
        .value_kind:     by_value
      - .address_space:  global
        .offset:         32
        .size:           8
        .value_kind:     global_buffer
      - .offset:         40
        .size:           8
        .value_kind:     by_value
      - .offset:         48
        .size:           8
        .value_kind:     by_value
      - .offset:         56
        .size:           8
        .value_kind:     by_value
      - .address_space:  global
        .offset:         64
        .size:           8
        .value_kind:     global_buffer
      - .offset:         72
        .size:           8
        .value_kind:     by_value
      - .offset:         80
        .size:           8
        .value_kind:     by_value
      - .offset:         88
        .size:           8
        .value_kind:     by_value
      - .offset:         96
        .size:           8
        .value_kind:     by_value
      - .address_space:  global
        .offset:         104
        .size:           8
        .value_kind:     global_buffer
      - .offset:         112
        .size:           8
        .value_kind:     by_value
      - .offset:         120
        .size:           8
        .value_kind:     by_value
      - .offset:         128
        .size:           8
        .value_kind:     by_value
      - .offset:         136
        .size:           4
        .value_kind:     by_value
    .group_segment_fixed_size: 0
    .kernarg_segment_align: 8
    .kernarg_segment_size: 140
    .language:       OpenCL C
    .language_version:
      - 2
      - 0
    .max_flat_workgroup_size: 1024
    .name:           _ZL20rocblas_gbmvt_kernelILi64ELi16E24rocblas_internal_val_ptrIfEPKPKfPKPfEvb18rocblas_operation_iiiiT1_T2_lllSB_lllSA_T3_llli
    .private_segment_fixed_size: 0
    .sgpr_count:     37
    .sgpr_spill_count: 0
    .symbol:         _ZL20rocblas_gbmvt_kernelILi64ELi16E24rocblas_internal_val_ptrIfEPKPKfPKPfEvb18rocblas_operation_iiiiT1_T2_lllSB_lllSA_T3_llli.kd
    .uniform_work_group_size: 1
    .uses_dynamic_stack: false
    .vgpr_count:     11
    .vgpr_spill_count: 0
    .wavefront_size: 64
amdhsa.target:   amdgcn-amd-amdhsa--gfx950
amdhsa.version:
  - 1
  - 2
...

	.end_amdgpu_metadata
